;; amdgpu-corpus repo=pytorch/pytorch kind=compiled arch=gfx90a opt=O3
	.text
	.amdgcn_target "amdgcn-amd-amdhsa--gfx90a"
	.amdhsa_code_object_version 6
	.section	.text._ZN2at6native12cross_kernelIh16OffsetCalculatorILi3EjLb0EElEEviPT_PKS4_S7_T0_T1_S9_S9_,"axG",@progbits,_ZN2at6native12cross_kernelIh16OffsetCalculatorILi3EjLb0EElEEviPT_PKS4_S7_T0_T1_S9_S9_,comdat
	.protected	_ZN2at6native12cross_kernelIh16OffsetCalculatorILi3EjLb0EElEEviPT_PKS4_S7_T0_T1_S9_S9_ ; -- Begin function _ZN2at6native12cross_kernelIh16OffsetCalculatorILi3EjLb0EElEEviPT_PKS4_S7_T0_T1_S9_S9_
	.globl	_ZN2at6native12cross_kernelIh16OffsetCalculatorILi3EjLb0EElEEviPT_PKS4_S7_T0_T1_S9_S9_
	.p2align	8
	.type	_ZN2at6native12cross_kernelIh16OffsetCalculatorILi3EjLb0EElEEviPT_PKS4_S7_T0_T1_S9_S9_,@function
_ZN2at6native12cross_kernelIh16OffsetCalculatorILi3EjLb0EElEEviPT_PKS4_S7_T0_T1_S9_S9_: ; @_ZN2at6native12cross_kernelIh16OffsetCalculatorILi3EjLb0EElEEviPT_PKS4_S7_T0_T1_S9_S9_
; %bb.0:
	s_load_dword s2, s[4:5], 0x0
	s_load_dword s7, s[4:5], 0x1cc
	v_mov_b32_e32 v1, 0
	v_mov_b32_e32 v2, s6
	s_waitcnt lgkmcnt(0)
	s_ashr_i32 s3, s2, 31
	s_add_u32 s0, s4, 0x1c0
	s_addc_u32 s1, s5, 0
	s_and_b32 s33, s7, 0xffff
	v_mad_u64_u32 v[0:1], s[6:7], s33, v2, v[0:1]
	v_cmp_gt_i64_e32 vcc, s[2:3], v[0:1]
	s_and_saveexec_b64 s[6:7], vcc
	s_cbranch_execz .LBB0_13
; %bb.1:
	s_load_dwordx8 s[8:15], s[4:5], 0x20
	s_load_dwordx4 s[16:19], s[4:5], 0x8
	s_load_dwordx2 s[6:7], s[4:5], 0x18
	s_load_dwordx2 s[28:29], s[4:5], 0x1b8
	s_load_dwordx4 s[20:23], s[4:5], 0x1a8
	s_load_dword s42, s[0:1], 0x0
	s_waitcnt lgkmcnt(0)
	s_add_i32 s0, s8, -1
	s_load_dwordx4 s[24:27], s[4:5], 0xe4
	s_load_dwordx2 s[36:37], s[4:5], 0xf4
	s_cmp_gt_u32 s0, 1
	s_cselect_b64 s[30:31], -1, 0
	s_cmp_lg_u32 s8, 0
	s_cselect_b64 s[34:35], -1, 0
	s_min_u32 s0, s0, 15
	s_cmp_gt_u32 s8, 1
	s_waitcnt lgkmcnt(0)
	s_mov_b32 s15, s25
	s_mov_b32 s25, s26
	s_cselect_b64 s[38:39], -1, 0
	s_add_i32 s26, s0, 1
	s_lshl_b64 s[40:41], s[28:29], 1
	s_and_b32 s26, s26, 30
	s_bitcmp0_b32 s0, 0
	s_mov_b32 s1, 0
	s_mov_b32 s8, s13
	s_mul_i32 s13, s42, s33
	s_cselect_b64 s[42:43], -1, 0
	s_add_u32 s4, s4, 12
	s_addc_u32 s5, s5, 0
	s_mov_b64 s[44:45], 0
	v_mov_b32_e32 v8, s17
	v_mov_b32_e32 v9, s19
	;; [unrolled: 1-line block ×8, first 2 shown]
	s_branch .LBB0_3
.LBB0_2:                                ;   in Loop: Header=BB0_3 Depth=1
	v_add_co_u32_e32 v3, vcc, s18, v6
	v_addc_co_u32_e32 v5, vcc, 0, v9, vcc
	v_add_co_u32_e32 v7, vcc, s6, v4
	v_addc_co_u32_e32 v20, vcc, 0, v10, vcc
	;; [unrolled: 2-line block ×4, first 2 shown]
	global_load_ubyte v3, v[16:17], off
	v_add_co_u32_e32 v16, vcc, s22, v16
	v_addc_co_u32_e32 v17, vcc, v17, v11, vcc
	global_load_ubyte v21, v[18:19], off
	v_add_co_u32_e32 v18, vcc, s28, v7
	v_addc_co_u32_e32 v19, vcc, v20, v13, vcc
	global_load_ubyte v20, v6, s[18:19]
	global_load_ubyte v22, v[18:19], off
	global_load_ubyte v23, v4, s[6:7]
	global_load_ubyte v24, v[16:17], off
	v_add_co_u32_e32 v4, vcc, s16, v2
	v_addc_co_u32_e32 v5, vcc, 0, v8, vcc
	v_add_co_u32_e32 v0, vcc, s13, v0
	v_addc_co_u32_e32 v1, vcc, v1, v15, vcc
	;; [unrolled: 2-line block ×3, first 2 shown]
	v_cmp_le_i64_e32 vcc, s[2:3], v[0:1]
	v_add_co_u32_e64 v6, s[0:1], s20, v4
	s_or_b64 s[44:45], vcc, s[44:45]
	v_addc_co_u32_e64 v7, s[0:1], v5, v14, s[0:1]
	s_waitcnt vmcnt(4)
	v_mul_lo_u16_e32 v16, v21, v3
	s_waitcnt vmcnt(3)
	v_mul_lo_u16_e32 v17, v20, v21
	;; [unrolled: 2-line block ×5, first 2 shown]
	v_mul_lo_u16_e32 v20, v23, v24
	v_sub_u16_e32 v16, v16, v19
	v_sub_u16_e32 v3, v18, v3
	;; [unrolled: 1-line block ×3, first 2 shown]
	global_store_byte v2, v16, s[16:17]
	global_store_byte v[4:5], v17, off
	global_store_byte v[6:7], v3, off
	s_andn2_b64 exec, exec, s[44:45]
	s_cbranch_execz .LBB0_13
.LBB0_3:                                ; =>This Loop Header: Depth=1
                                        ;     Child Loop BB0_6 Depth 2
	s_andn2_b64 vcc, exec, s[30:31]
	s_cbranch_vccnz .LBB0_10
; %bb.4:                                ;   in Loop: Header=BB0_3 Depth=1
	s_andn2_b64 vcc, exec, s[34:35]
	v_mov_b32_e32 v4, 0
	v_mov_b32_e32 v6, 0
	;; [unrolled: 1-line block ×3, first 2 shown]
	s_cbranch_vccnz .LBB0_9
; %bb.5:                                ;   in Loop: Header=BB0_3 Depth=1
	v_mov_b32_e32 v2, 0
	s_mov_b32 s21, s26
	s_mov_b64 s[0:1], s[4:5]
	v_mov_b32_e32 v3, v0
	v_mov_b32_e32 v6, 0
	;; [unrolled: 1-line block ×3, first 2 shown]
.LBB0_6:                                ;   Parent Loop BB0_3 Depth=1
                                        ; =>  This Inner Loop Header: Depth=2
	s_mov_b64 s[46:47], s[0:1]
	s_load_dwordx4 s[48:51], s[46:47], 0x18
	s_load_dwordx2 s[56:57], s[46:47], 0x28
	s_load_dwordx2 s[58:59], s[46:47], 0xe8
	s_load_dwordx4 s[52:55], s[46:47], 0xd8
	s_add_u32 s0, s46, 24
	s_waitcnt lgkmcnt(0)
	v_mul_hi_u32 v5, s49, v3
	v_add_u32_e32 v5, v3, v5
	v_lshrrev_b32_e32 v5, s50, v5
	v_mul_lo_u32 v7, v5, s48
	v_mul_hi_u32 v16, s56, v5
	v_sub_u32_e32 v3, v3, v7
	v_add_u32_e32 v7, v5, v16
	v_mul_lo_u32 v16, v3, s52
	v_mul_lo_u32 v17, v3, s53
	;; [unrolled: 1-line block ×3, first 2 shown]
	v_lshrrev_b32_e32 v3, s57, v7
	v_mul_lo_u32 v7, v3, s51
	v_sub_u32_e32 v5, v5, v7
	s_addc_u32 s1, s47, 0
	s_add_i32 s21, s21, -2
	v_mul_lo_u32 v7, v5, s55
	v_mul_lo_u32 v19, v5, s58
	;; [unrolled: 1-line block ×3, first 2 shown]
	s_cmp_lg_u32 s21, 0
	v_add3_u32 v2, v16, v2, v7
	v_add3_u32 v4, v18, v4, v5
	;; [unrolled: 1-line block ×3, first 2 shown]
	s_cbranch_scc1 .LBB0_6
; %bb.7:                                ;   in Loop: Header=BB0_3 Depth=1
	s_andn2_b64 vcc, exec, s[42:43]
	s_cbranch_vccnz .LBB0_9
; %bb.8:                                ;   in Loop: Header=BB0_3 Depth=1
	s_load_dwordx2 s[46:47], s[0:1], 0x18
	s_load_dword s21, s[0:1], 0x20
	s_load_dword s23, s[0:1], 0xe0
	s_load_dwordx2 s[48:49], s[0:1], 0xd8
	s_waitcnt lgkmcnt(0)
	v_mul_hi_u32 v5, s47, v3
	v_add_u32_e32 v5, v3, v5
	v_lshrrev_b32_e32 v5, s21, v5
	v_mul_lo_u32 v5, v5, s46
	v_sub_u32_e32 v5, v3, v5
	v_mad_u64_u32 v[2:3], s[0:1], v5, s48, v[2:3]
	v_mad_u64_u32 v[6:7], s[0:1], v5, s49, v[6:7]
	;; [unrolled: 1-line block ×3, first 2 shown]
.LBB0_9:                                ;   in Loop: Header=BB0_3 Depth=1
	s_cbranch_execnz .LBB0_2
	s_branch .LBB0_11
.LBB0_10:                               ;   in Loop: Header=BB0_3 Depth=1
                                        ; implicit-def: $vgpr4
                                        ; implicit-def: $vgpr6
                                        ; implicit-def: $vgpr2
.LBB0_11:                               ;   in Loop: Header=BB0_3 Depth=1
	v_mul_hi_u32 v2, v0, s10
	v_add_u32_e32 v2, v2, v0
	v_lshrrev_b32_e32 v3, s11, v2
	v_mul_lo_u32 v2, v3, s9
	v_sub_u32_e32 v5, v0, v2
	v_mul_lo_u32 v2, v5, s24
	v_mul_lo_u32 v4, v5, s25
	s_andn2_b64 vcc, exec, s[38:39]
	v_mul_lo_u32 v6, v5, s15
	s_cbranch_vccnz .LBB0_2
; %bb.12:                               ;   in Loop: Header=BB0_3 Depth=1
	v_mul_hi_u32 v5, s8, v3
	v_add_u32_e32 v5, v3, v5
	v_lshrrev_b32_e32 v5, s14, v5
	v_mul_lo_u32 v5, v5, s12
	v_sub_u32_e32 v5, v3, v5
	v_mad_u64_u32 v[2:3], s[0:1], v5, s27, v[2:3]
	v_mad_u64_u32 v[6:7], s[0:1], v5, s36, v[6:7]
	;; [unrolled: 1-line block ×3, first 2 shown]
	s_branch .LBB0_2
.LBB0_13:
	s_endpgm
	.section	.rodata,"a",@progbits
	.p2align	6, 0x0
	.amdhsa_kernel _ZN2at6native12cross_kernelIh16OffsetCalculatorILi3EjLb0EElEEviPT_PKS4_S7_T0_T1_S9_S9_
		.amdhsa_group_segment_fixed_size 0
		.amdhsa_private_segment_fixed_size 0
		.amdhsa_kernarg_size 704
		.amdhsa_user_sgpr_count 6
		.amdhsa_user_sgpr_private_segment_buffer 1
		.amdhsa_user_sgpr_dispatch_ptr 0
		.amdhsa_user_sgpr_queue_ptr 0
		.amdhsa_user_sgpr_kernarg_segment_ptr 1
		.amdhsa_user_sgpr_dispatch_id 0
		.amdhsa_user_sgpr_flat_scratch_init 0
		.amdhsa_user_sgpr_kernarg_preload_length 0
		.amdhsa_user_sgpr_kernarg_preload_offset 0
		.amdhsa_user_sgpr_private_segment_size 0
		.amdhsa_uses_dynamic_stack 0
		.amdhsa_system_sgpr_private_segment_wavefront_offset 0
		.amdhsa_system_sgpr_workgroup_id_x 1
		.amdhsa_system_sgpr_workgroup_id_y 0
		.amdhsa_system_sgpr_workgroup_id_z 0
		.amdhsa_system_sgpr_workgroup_info 0
		.amdhsa_system_vgpr_workitem_id 0
		.amdhsa_next_free_vgpr 25
		.amdhsa_next_free_sgpr 60
		.amdhsa_accum_offset 28
		.amdhsa_reserve_vcc 1
		.amdhsa_reserve_flat_scratch 0
		.amdhsa_float_round_mode_32 0
		.amdhsa_float_round_mode_16_64 0
		.amdhsa_float_denorm_mode_32 3
		.amdhsa_float_denorm_mode_16_64 3
		.amdhsa_dx10_clamp 1
		.amdhsa_ieee_mode 1
		.amdhsa_fp16_overflow 0
		.amdhsa_tg_split 0
		.amdhsa_exception_fp_ieee_invalid_op 0
		.amdhsa_exception_fp_denorm_src 0
		.amdhsa_exception_fp_ieee_div_zero 0
		.amdhsa_exception_fp_ieee_overflow 0
		.amdhsa_exception_fp_ieee_underflow 0
		.amdhsa_exception_fp_ieee_inexact 0
		.amdhsa_exception_int_div_zero 0
	.end_amdhsa_kernel
	.section	.text._ZN2at6native12cross_kernelIh16OffsetCalculatorILi3EjLb0EElEEviPT_PKS4_S7_T0_T1_S9_S9_,"axG",@progbits,_ZN2at6native12cross_kernelIh16OffsetCalculatorILi3EjLb0EElEEviPT_PKS4_S7_T0_T1_S9_S9_,comdat
.Lfunc_end0:
	.size	_ZN2at6native12cross_kernelIh16OffsetCalculatorILi3EjLb0EElEEviPT_PKS4_S7_T0_T1_S9_S9_, .Lfunc_end0-_ZN2at6native12cross_kernelIh16OffsetCalculatorILi3EjLb0EElEEviPT_PKS4_S7_T0_T1_S9_S9_
                                        ; -- End function
	.section	.AMDGPU.csdata,"",@progbits
; Kernel info:
; codeLenInByte = 960
; NumSgprs: 64
; NumVgprs: 25
; NumAgprs: 0
; TotalNumVgprs: 25
; ScratchSize: 0
; MemoryBound: 0
; FloatMode: 240
; IeeeMode: 1
; LDSByteSize: 0 bytes/workgroup (compile time only)
; SGPRBlocks: 7
; VGPRBlocks: 3
; NumSGPRsForWavesPerEU: 64
; NumVGPRsForWavesPerEU: 25
; AccumOffset: 28
; Occupancy: 8
; WaveLimiterHint : 1
; COMPUTE_PGM_RSRC2:SCRATCH_EN: 0
; COMPUTE_PGM_RSRC2:USER_SGPR: 6
; COMPUTE_PGM_RSRC2:TRAP_HANDLER: 0
; COMPUTE_PGM_RSRC2:TGID_X_EN: 1
; COMPUTE_PGM_RSRC2:TGID_Y_EN: 0
; COMPUTE_PGM_RSRC2:TGID_Z_EN: 0
; COMPUTE_PGM_RSRC2:TIDIG_COMP_CNT: 0
; COMPUTE_PGM_RSRC3_GFX90A:ACCUM_OFFSET: 6
; COMPUTE_PGM_RSRC3_GFX90A:TG_SPLIT: 0
	.section	.text._ZN2at6native12cross_kernelIh16OffsetCalculatorILi3EjLb0EEiEEviPT_PKS4_S7_T0_T1_S9_S9_,"axG",@progbits,_ZN2at6native12cross_kernelIh16OffsetCalculatorILi3EjLb0EEiEEviPT_PKS4_S7_T0_T1_S9_S9_,comdat
	.protected	_ZN2at6native12cross_kernelIh16OffsetCalculatorILi3EjLb0EEiEEviPT_PKS4_S7_T0_T1_S9_S9_ ; -- Begin function _ZN2at6native12cross_kernelIh16OffsetCalculatorILi3EjLb0EEiEEviPT_PKS4_S7_T0_T1_S9_S9_
	.globl	_ZN2at6native12cross_kernelIh16OffsetCalculatorILi3EjLb0EEiEEviPT_PKS4_S7_T0_T1_S9_S9_
	.p2align	8
	.type	_ZN2at6native12cross_kernelIh16OffsetCalculatorILi3EjLb0EEiEEviPT_PKS4_S7_T0_T1_S9_S9_,@function
_ZN2at6native12cross_kernelIh16OffsetCalculatorILi3EjLb0EEiEEviPT_PKS4_S7_T0_T1_S9_S9_: ; @_ZN2at6native12cross_kernelIh16OffsetCalculatorILi3EjLb0EEiEEviPT_PKS4_S7_T0_T1_S9_S9_
; %bb.0:
	s_load_dword s2, s[4:5], 0x0
	s_load_dword s7, s[4:5], 0x1bc
	v_mov_b32_e32 v1, 0
	v_mov_b32_e32 v2, s6
	s_waitcnt lgkmcnt(0)
	s_ashr_i32 s3, s2, 31
	s_add_u32 s0, s4, 0x1b0
	s_addc_u32 s1, s5, 0
	s_and_b32 s33, s7, 0xffff
	v_mad_u64_u32 v[0:1], s[6:7], s33, v2, v[0:1]
	v_cmp_gt_i64_e32 vcc, s[2:3], v[0:1]
	s_and_saveexec_b64 s[6:7], vcc
	s_cbranch_execz .LBB1_13
; %bb.1:
	s_load_dwordx8 s[8:15], s[4:5], 0x20
	s_load_dwordx4 s[16:19], s[4:5], 0x8
	s_load_dwordx2 s[6:7], s[4:5], 0x18
	s_load_dwordx4 s[20:23], s[4:5], 0x1a4
	s_load_dword s38, s[0:1], 0x0
	s_waitcnt lgkmcnt(0)
	s_add_i32 s0, s8, -1
	s_load_dwordx4 s[24:27], s[4:5], 0xe4
	s_load_dwordx2 s[34:35], s[4:5], 0xf4
	s_cmp_gt_u32 s0, 1
	s_cselect_b64 s[28:29], -1, 0
	s_cmp_lg_u32 s8, 0
	s_cselect_b64 s[30:31], -1, 0
	s_min_u32 s0, s0, 15
	s_cmp_gt_u32 s8, 1
	s_waitcnt lgkmcnt(0)
	s_mov_b32 s15, s25
	s_cselect_b64 s[36:37], -1, 0
	s_lshl_b32 s25, s22, 1
	s_mul_i32 s33, s38, s33
	s_add_i32 s38, s0, 1
	s_ashr_i32 s43, s21, 31
	s_ashr_i32 s44, s25, 31
	;; [unrolled: 1-line block ×4, first 2 shown]
	s_and_b32 s42, s38, 30
	s_bitcmp0_b32 s0, 0
	s_mov_b32 s1, 0
	s_cselect_b64 s[38:39], -1, 0
	s_add_u32 s4, s4, 12
	s_mov_b32 s23, s26
	s_mov_b32 s8, s13
	;; [unrolled: 1-line block ×4, first 2 shown]
	s_addc_u32 s5, s5, 0
	s_mov_b64 s[40:41], 0
	v_mov_b32_e32 v8, s17
	v_mov_b32_e32 v9, s19
	;; [unrolled: 1-line block ×10, first 2 shown]
	s_branch .LBB1_3
.LBB1_2:                                ;   in Loop: Header=BB1_3 Depth=1
	v_add_co_u32_e32 v3, vcc, s18, v6
	v_addc_co_u32_e32 v5, vcc, 0, v9, vcc
	v_add_co_u32_e32 v7, vcc, s6, v4
	v_addc_co_u32_e32 v22, vcc, 0, v10, vcc
	v_add_co_u32_e32 v18, vcc, s13, v3
	v_addc_co_u32_e32 v19, vcc, v5, v11, vcc
	v_add_co_u32_e32 v20, vcc, s25, v7
	v_addc_co_u32_e32 v21, vcc, v22, v12, vcc
	global_load_ubyte v3, v[18:19], off
	v_add_co_u32_e32 v18, vcc, s21, v18
	v_addc_co_u32_e32 v19, vcc, v19, v13, vcc
	global_load_ubyte v23, v[20:21], off
	v_add_co_u32_e32 v20, vcc, s22, v7
	v_addc_co_u32_e32 v21, vcc, v22, v14, vcc
	global_load_ubyte v22, v6, s[18:19]
	global_load_ubyte v24, v[20:21], off
	global_load_ubyte v25, v4, s[6:7]
	global_load_ubyte v26, v[18:19], off
	v_add_co_u32_e32 v4, vcc, s16, v2
	v_addc_co_u32_e32 v5, vcc, 0, v8, vcc
	v_add_co_u32_e32 v0, vcc, s33, v0
	v_addc_co_u32_e32 v1, vcc, v1, v17, vcc
	;; [unrolled: 2-line block ×3, first 2 shown]
	v_cmp_le_i64_e32 vcc, s[2:3], v[0:1]
	v_add_co_u32_e64 v6, s[0:1], s20, v4
	s_or_b64 s[40:41], vcc, s[40:41]
	v_addc_co_u32_e64 v7, s[0:1], v5, v16, s[0:1]
	s_waitcnt vmcnt(4)
	v_mul_lo_u16_e32 v18, v23, v3
	s_waitcnt vmcnt(3)
	v_mul_lo_u16_e32 v19, v22, v23
	;; [unrolled: 2-line block ×5, first 2 shown]
	v_mul_lo_u16_e32 v22, v25, v26
	v_sub_u16_e32 v18, v18, v21
	v_sub_u16_e32 v3, v20, v3
	;; [unrolled: 1-line block ×3, first 2 shown]
	global_store_byte v2, v18, s[16:17]
	global_store_byte v[4:5], v19, off
	global_store_byte v[6:7], v3, off
	s_andn2_b64 exec, exec, s[40:41]
	s_cbranch_execz .LBB1_13
.LBB1_3:                                ; =>This Loop Header: Depth=1
                                        ;     Child Loop BB1_6 Depth 2
	s_andn2_b64 vcc, exec, s[28:29]
	s_cbranch_vccnz .LBB1_10
; %bb.4:                                ;   in Loop: Header=BB1_3 Depth=1
	s_andn2_b64 vcc, exec, s[30:31]
	v_mov_b32_e32 v4, 0
	v_mov_b32_e32 v6, 0
	;; [unrolled: 1-line block ×3, first 2 shown]
	s_cbranch_vccnz .LBB1_9
; %bb.5:                                ;   in Loop: Header=BB1_3 Depth=1
	v_mov_b32_e32 v2, 0
	s_mov_b32 s43, s42
	s_mov_b64 s[0:1], s[4:5]
	v_mov_b32_e32 v3, v0
	v_mov_b32_e32 v6, 0
	;; [unrolled: 1-line block ×3, first 2 shown]
.LBB1_6:                                ;   Parent Loop BB1_3 Depth=1
                                        ; =>  This Inner Loop Header: Depth=2
	s_mov_b64 s[52:53], s[0:1]
	s_load_dwordx4 s[44:47], s[52:53], 0x18
	s_load_dwordx2 s[54:55], s[52:53], 0x28
	s_load_dwordx2 s[56:57], s[52:53], 0xe8
	s_load_dwordx4 s[48:51], s[52:53], 0xd8
	s_add_u32 s0, s52, 24
	s_waitcnt lgkmcnt(0)
	v_mul_hi_u32 v5, s45, v3
	v_add_u32_e32 v5, v3, v5
	v_lshrrev_b32_e32 v5, s46, v5
	v_mul_lo_u32 v7, v5, s44
	v_mul_hi_u32 v18, s54, v5
	v_sub_u32_e32 v3, v3, v7
	v_add_u32_e32 v7, v5, v18
	v_mul_lo_u32 v18, v3, s48
	v_mul_lo_u32 v19, v3, s49
	v_mul_lo_u32 v20, v3, s50
	v_lshrrev_b32_e32 v3, s55, v7
	v_mul_lo_u32 v7, v3, s47
	v_sub_u32_e32 v5, v5, v7
	s_addc_u32 s1, s53, 0
	s_add_i32 s43, s43, -2
	v_mul_lo_u32 v7, v5, s51
	v_mul_lo_u32 v21, v5, s56
	;; [unrolled: 1-line block ×3, first 2 shown]
	s_cmp_lg_u32 s43, 0
	v_add3_u32 v2, v18, v2, v7
	v_add3_u32 v4, v20, v4, v5
	v_add3_u32 v6, v19, v6, v21
	s_cbranch_scc1 .LBB1_6
; %bb.7:                                ;   in Loop: Header=BB1_3 Depth=1
	s_andn2_b64 vcc, exec, s[38:39]
	s_cbranch_vccnz .LBB1_9
; %bb.8:                                ;   in Loop: Header=BB1_3 Depth=1
	s_load_dwordx2 s[44:45], s[0:1], 0x18
	s_load_dword s43, s[0:1], 0x20
	s_load_dword s46, s[0:1], 0xe0
	s_nop 0
	s_load_dwordx2 s[0:1], s[0:1], 0xd8
	s_waitcnt lgkmcnt(0)
	v_mul_hi_u32 v5, s45, v3
	v_add_u32_e32 v5, v3, v5
	v_lshrrev_b32_e32 v5, s43, v5
	v_mul_lo_u32 v5, v5, s44
	v_sub_u32_e32 v5, v3, v5
	v_mad_u64_u32 v[2:3], s[44:45], v5, s0, v[2:3]
	v_mad_u64_u32 v[6:7], s[0:1], v5, s1, v[6:7]
	;; [unrolled: 1-line block ×3, first 2 shown]
.LBB1_9:                                ;   in Loop: Header=BB1_3 Depth=1
	s_cbranch_execnz .LBB1_2
	s_branch .LBB1_11
.LBB1_10:                               ;   in Loop: Header=BB1_3 Depth=1
                                        ; implicit-def: $vgpr4
                                        ; implicit-def: $vgpr6
                                        ; implicit-def: $vgpr2
.LBB1_11:                               ;   in Loop: Header=BB1_3 Depth=1
	v_mul_hi_u32 v2, v0, s10
	v_add_u32_e32 v2, v2, v0
	v_lshrrev_b32_e32 v3, s11, v2
	v_mul_lo_u32 v2, v3, s9
	v_sub_u32_e32 v5, v0, v2
	v_mul_lo_u32 v2, v5, s24
	v_mul_lo_u32 v4, v5, s23
	s_andn2_b64 vcc, exec, s[36:37]
	v_mul_lo_u32 v6, v5, s15
	s_cbranch_vccnz .LBB1_2
; %bb.12:                               ;   in Loop: Header=BB1_3 Depth=1
	v_mul_hi_u32 v5, s8, v3
	v_add_u32_e32 v5, v3, v5
	v_lshrrev_b32_e32 v5, s14, v5
	v_mul_lo_u32 v5, v5, s12
	v_sub_u32_e32 v5, v3, v5
	v_mad_u64_u32 v[2:3], s[0:1], v5, s27, v[2:3]
	v_mad_u64_u32 v[6:7], s[0:1], v5, s34, v[6:7]
	;; [unrolled: 1-line block ×3, first 2 shown]
	s_branch .LBB1_2
.LBB1_13:
	s_endpgm
	.section	.rodata,"a",@progbits
	.p2align	6, 0x0
	.amdhsa_kernel _ZN2at6native12cross_kernelIh16OffsetCalculatorILi3EjLb0EEiEEviPT_PKS4_S7_T0_T1_S9_S9_
		.amdhsa_group_segment_fixed_size 0
		.amdhsa_private_segment_fixed_size 0
		.amdhsa_kernarg_size 688
		.amdhsa_user_sgpr_count 6
		.amdhsa_user_sgpr_private_segment_buffer 1
		.amdhsa_user_sgpr_dispatch_ptr 0
		.amdhsa_user_sgpr_queue_ptr 0
		.amdhsa_user_sgpr_kernarg_segment_ptr 1
		.amdhsa_user_sgpr_dispatch_id 0
		.amdhsa_user_sgpr_flat_scratch_init 0
		.amdhsa_user_sgpr_kernarg_preload_length 0
		.amdhsa_user_sgpr_kernarg_preload_offset 0
		.amdhsa_user_sgpr_private_segment_size 0
		.amdhsa_uses_dynamic_stack 0
		.amdhsa_system_sgpr_private_segment_wavefront_offset 0
		.amdhsa_system_sgpr_workgroup_id_x 1
		.amdhsa_system_sgpr_workgroup_id_y 0
		.amdhsa_system_sgpr_workgroup_id_z 0
		.amdhsa_system_sgpr_workgroup_info 0
		.amdhsa_system_vgpr_workitem_id 0
		.amdhsa_next_free_vgpr 27
		.amdhsa_next_free_sgpr 58
		.amdhsa_accum_offset 28
		.amdhsa_reserve_vcc 1
		.amdhsa_reserve_flat_scratch 0
		.amdhsa_float_round_mode_32 0
		.amdhsa_float_round_mode_16_64 0
		.amdhsa_float_denorm_mode_32 3
		.amdhsa_float_denorm_mode_16_64 3
		.amdhsa_dx10_clamp 1
		.amdhsa_ieee_mode 1
		.amdhsa_fp16_overflow 0
		.amdhsa_tg_split 0
		.amdhsa_exception_fp_ieee_invalid_op 0
		.amdhsa_exception_fp_denorm_src 0
		.amdhsa_exception_fp_ieee_div_zero 0
		.amdhsa_exception_fp_ieee_overflow 0
		.amdhsa_exception_fp_ieee_underflow 0
		.amdhsa_exception_fp_ieee_inexact 0
		.amdhsa_exception_int_div_zero 0
	.end_amdhsa_kernel
	.section	.text._ZN2at6native12cross_kernelIh16OffsetCalculatorILi3EjLb0EEiEEviPT_PKS4_S7_T0_T1_S9_S9_,"axG",@progbits,_ZN2at6native12cross_kernelIh16OffsetCalculatorILi3EjLb0EEiEEviPT_PKS4_S7_T0_T1_S9_S9_,comdat
.Lfunc_end1:
	.size	_ZN2at6native12cross_kernelIh16OffsetCalculatorILi3EjLb0EEiEEviPT_PKS4_S7_T0_T1_S9_S9_, .Lfunc_end1-_ZN2at6native12cross_kernelIh16OffsetCalculatorILi3EjLb0EEiEEviPT_PKS4_S7_T0_T1_S9_S9_
                                        ; -- End function
	.section	.AMDGPU.csdata,"",@progbits
; Kernel info:
; codeLenInByte = 988
; NumSgprs: 62
; NumVgprs: 27
; NumAgprs: 0
; TotalNumVgprs: 27
; ScratchSize: 0
; MemoryBound: 0
; FloatMode: 240
; IeeeMode: 1
; LDSByteSize: 0 bytes/workgroup (compile time only)
; SGPRBlocks: 7
; VGPRBlocks: 3
; NumSGPRsForWavesPerEU: 62
; NumVGPRsForWavesPerEU: 27
; AccumOffset: 28
; Occupancy: 8
; WaveLimiterHint : 1
; COMPUTE_PGM_RSRC2:SCRATCH_EN: 0
; COMPUTE_PGM_RSRC2:USER_SGPR: 6
; COMPUTE_PGM_RSRC2:TRAP_HANDLER: 0
; COMPUTE_PGM_RSRC2:TGID_X_EN: 1
; COMPUTE_PGM_RSRC2:TGID_Y_EN: 0
; COMPUTE_PGM_RSRC2:TGID_Z_EN: 0
; COMPUTE_PGM_RSRC2:TIDIG_COMP_CNT: 0
; COMPUTE_PGM_RSRC3_GFX90A:ACCUM_OFFSET: 6
; COMPUTE_PGM_RSRC3_GFX90A:TG_SPLIT: 0
	.section	.text._ZN2at6native12cross_kernelIa16OffsetCalculatorILi3EjLb0EElEEviPT_PKS4_S7_T0_T1_S9_S9_,"axG",@progbits,_ZN2at6native12cross_kernelIa16OffsetCalculatorILi3EjLb0EElEEviPT_PKS4_S7_T0_T1_S9_S9_,comdat
	.protected	_ZN2at6native12cross_kernelIa16OffsetCalculatorILi3EjLb0EElEEviPT_PKS4_S7_T0_T1_S9_S9_ ; -- Begin function _ZN2at6native12cross_kernelIa16OffsetCalculatorILi3EjLb0EElEEviPT_PKS4_S7_T0_T1_S9_S9_
	.globl	_ZN2at6native12cross_kernelIa16OffsetCalculatorILi3EjLb0EElEEviPT_PKS4_S7_T0_T1_S9_S9_
	.p2align	8
	.type	_ZN2at6native12cross_kernelIa16OffsetCalculatorILi3EjLb0EElEEviPT_PKS4_S7_T0_T1_S9_S9_,@function
_ZN2at6native12cross_kernelIa16OffsetCalculatorILi3EjLb0EElEEviPT_PKS4_S7_T0_T1_S9_S9_: ; @_ZN2at6native12cross_kernelIa16OffsetCalculatorILi3EjLb0EElEEviPT_PKS4_S7_T0_T1_S9_S9_
; %bb.0:
	s_load_dword s2, s[4:5], 0x0
	s_load_dword s7, s[4:5], 0x1cc
	v_mov_b32_e32 v1, 0
	v_mov_b32_e32 v2, s6
	s_waitcnt lgkmcnt(0)
	s_ashr_i32 s3, s2, 31
	s_add_u32 s0, s4, 0x1c0
	s_addc_u32 s1, s5, 0
	s_and_b32 s33, s7, 0xffff
	v_mad_u64_u32 v[0:1], s[6:7], s33, v2, v[0:1]
	v_cmp_gt_i64_e32 vcc, s[2:3], v[0:1]
	s_and_saveexec_b64 s[6:7], vcc
	s_cbranch_execz .LBB2_13
; %bb.1:
	s_load_dwordx8 s[8:15], s[4:5], 0x20
	s_load_dwordx4 s[16:19], s[4:5], 0x8
	s_load_dwordx2 s[6:7], s[4:5], 0x18
	s_load_dwordx2 s[28:29], s[4:5], 0x1b8
	s_load_dwordx4 s[20:23], s[4:5], 0x1a8
	s_load_dword s42, s[0:1], 0x0
	s_waitcnt lgkmcnt(0)
	s_add_i32 s0, s8, -1
	s_load_dwordx4 s[24:27], s[4:5], 0xe4
	s_load_dwordx2 s[36:37], s[4:5], 0xf4
	s_cmp_gt_u32 s0, 1
	s_cselect_b64 s[30:31], -1, 0
	s_cmp_lg_u32 s8, 0
	s_cselect_b64 s[34:35], -1, 0
	s_min_u32 s0, s0, 15
	s_cmp_gt_u32 s8, 1
	s_waitcnt lgkmcnt(0)
	s_mov_b32 s15, s25
	s_mov_b32 s25, s26
	s_cselect_b64 s[38:39], -1, 0
	s_add_i32 s26, s0, 1
	s_lshl_b64 s[40:41], s[28:29], 1
	s_and_b32 s26, s26, 30
	s_bitcmp0_b32 s0, 0
	s_mov_b32 s1, 0
	s_mov_b32 s8, s13
	s_mul_i32 s13, s42, s33
	s_cselect_b64 s[42:43], -1, 0
	s_add_u32 s4, s4, 12
	s_addc_u32 s5, s5, 0
	s_mov_b64 s[44:45], 0
	v_mov_b32_e32 v8, s17
	v_mov_b32_e32 v9, s19
	;; [unrolled: 1-line block ×8, first 2 shown]
	s_branch .LBB2_3
.LBB2_2:                                ;   in Loop: Header=BB2_3 Depth=1
	v_add_co_u32_e32 v3, vcc, s18, v6
	v_addc_co_u32_e32 v5, vcc, 0, v9, vcc
	v_add_co_u32_e32 v7, vcc, s6, v4
	v_addc_co_u32_e32 v20, vcc, 0, v10, vcc
	;; [unrolled: 2-line block ×4, first 2 shown]
	global_load_ubyte v3, v[16:17], off
	v_add_co_u32_e32 v16, vcc, s22, v16
	v_addc_co_u32_e32 v17, vcc, v17, v11, vcc
	global_load_ubyte v21, v[18:19], off
	v_add_co_u32_e32 v18, vcc, s28, v7
	v_addc_co_u32_e32 v19, vcc, v20, v13, vcc
	global_load_ubyte v20, v6, s[18:19]
	global_load_ubyte v22, v[18:19], off
	global_load_ubyte v23, v4, s[6:7]
	global_load_ubyte v24, v[16:17], off
	v_add_co_u32_e32 v4, vcc, s16, v2
	v_addc_co_u32_e32 v5, vcc, 0, v8, vcc
	v_add_co_u32_e32 v0, vcc, s13, v0
	v_addc_co_u32_e32 v1, vcc, v1, v15, vcc
	;; [unrolled: 2-line block ×3, first 2 shown]
	v_cmp_le_i64_e32 vcc, s[2:3], v[0:1]
	v_add_co_u32_e64 v6, s[0:1], s20, v4
	s_or_b64 s[44:45], vcc, s[44:45]
	v_addc_co_u32_e64 v7, s[0:1], v5, v14, s[0:1]
	s_waitcnt vmcnt(4)
	v_mul_lo_u16_e32 v16, v21, v3
	s_waitcnt vmcnt(3)
	v_mul_lo_u16_e32 v17, v20, v21
	;; [unrolled: 2-line block ×5, first 2 shown]
	v_mul_lo_u16_e32 v20, v23, v24
	v_sub_u16_e32 v16, v16, v19
	v_sub_u16_e32 v3, v18, v3
	;; [unrolled: 1-line block ×3, first 2 shown]
	global_store_byte v2, v16, s[16:17]
	global_store_byte v[4:5], v17, off
	global_store_byte v[6:7], v3, off
	s_andn2_b64 exec, exec, s[44:45]
	s_cbranch_execz .LBB2_13
.LBB2_3:                                ; =>This Loop Header: Depth=1
                                        ;     Child Loop BB2_6 Depth 2
	s_andn2_b64 vcc, exec, s[30:31]
	s_cbranch_vccnz .LBB2_10
; %bb.4:                                ;   in Loop: Header=BB2_3 Depth=1
	s_andn2_b64 vcc, exec, s[34:35]
	v_mov_b32_e32 v4, 0
	v_mov_b32_e32 v6, 0
	;; [unrolled: 1-line block ×3, first 2 shown]
	s_cbranch_vccnz .LBB2_9
; %bb.5:                                ;   in Loop: Header=BB2_3 Depth=1
	v_mov_b32_e32 v2, 0
	s_mov_b32 s21, s26
	s_mov_b64 s[0:1], s[4:5]
	v_mov_b32_e32 v3, v0
	v_mov_b32_e32 v6, 0
	;; [unrolled: 1-line block ×3, first 2 shown]
.LBB2_6:                                ;   Parent Loop BB2_3 Depth=1
                                        ; =>  This Inner Loop Header: Depth=2
	s_mov_b64 s[46:47], s[0:1]
	s_load_dwordx4 s[48:51], s[46:47], 0x18
	s_load_dwordx2 s[56:57], s[46:47], 0x28
	s_load_dwordx2 s[58:59], s[46:47], 0xe8
	s_load_dwordx4 s[52:55], s[46:47], 0xd8
	s_add_u32 s0, s46, 24
	s_waitcnt lgkmcnt(0)
	v_mul_hi_u32 v5, s49, v3
	v_add_u32_e32 v5, v3, v5
	v_lshrrev_b32_e32 v5, s50, v5
	v_mul_lo_u32 v7, v5, s48
	v_mul_hi_u32 v16, s56, v5
	v_sub_u32_e32 v3, v3, v7
	v_add_u32_e32 v7, v5, v16
	v_mul_lo_u32 v16, v3, s52
	v_mul_lo_u32 v17, v3, s53
	;; [unrolled: 1-line block ×3, first 2 shown]
	v_lshrrev_b32_e32 v3, s57, v7
	v_mul_lo_u32 v7, v3, s51
	v_sub_u32_e32 v5, v5, v7
	s_addc_u32 s1, s47, 0
	s_add_i32 s21, s21, -2
	v_mul_lo_u32 v7, v5, s55
	v_mul_lo_u32 v19, v5, s58
	;; [unrolled: 1-line block ×3, first 2 shown]
	s_cmp_lg_u32 s21, 0
	v_add3_u32 v2, v16, v2, v7
	v_add3_u32 v4, v18, v4, v5
	;; [unrolled: 1-line block ×3, first 2 shown]
	s_cbranch_scc1 .LBB2_6
; %bb.7:                                ;   in Loop: Header=BB2_3 Depth=1
	s_andn2_b64 vcc, exec, s[42:43]
	s_cbranch_vccnz .LBB2_9
; %bb.8:                                ;   in Loop: Header=BB2_3 Depth=1
	s_load_dwordx2 s[46:47], s[0:1], 0x18
	s_load_dword s21, s[0:1], 0x20
	s_load_dword s23, s[0:1], 0xe0
	s_load_dwordx2 s[48:49], s[0:1], 0xd8
	s_waitcnt lgkmcnt(0)
	v_mul_hi_u32 v5, s47, v3
	v_add_u32_e32 v5, v3, v5
	v_lshrrev_b32_e32 v5, s21, v5
	v_mul_lo_u32 v5, v5, s46
	v_sub_u32_e32 v5, v3, v5
	v_mad_u64_u32 v[2:3], s[0:1], v5, s48, v[2:3]
	v_mad_u64_u32 v[6:7], s[0:1], v5, s49, v[6:7]
	;; [unrolled: 1-line block ×3, first 2 shown]
.LBB2_9:                                ;   in Loop: Header=BB2_3 Depth=1
	s_cbranch_execnz .LBB2_2
	s_branch .LBB2_11
.LBB2_10:                               ;   in Loop: Header=BB2_3 Depth=1
                                        ; implicit-def: $vgpr4
                                        ; implicit-def: $vgpr6
                                        ; implicit-def: $vgpr2
.LBB2_11:                               ;   in Loop: Header=BB2_3 Depth=1
	v_mul_hi_u32 v2, v0, s10
	v_add_u32_e32 v2, v2, v0
	v_lshrrev_b32_e32 v3, s11, v2
	v_mul_lo_u32 v2, v3, s9
	v_sub_u32_e32 v5, v0, v2
	v_mul_lo_u32 v2, v5, s24
	v_mul_lo_u32 v4, v5, s25
	s_andn2_b64 vcc, exec, s[38:39]
	v_mul_lo_u32 v6, v5, s15
	s_cbranch_vccnz .LBB2_2
; %bb.12:                               ;   in Loop: Header=BB2_3 Depth=1
	v_mul_hi_u32 v5, s8, v3
	v_add_u32_e32 v5, v3, v5
	v_lshrrev_b32_e32 v5, s14, v5
	v_mul_lo_u32 v5, v5, s12
	v_sub_u32_e32 v5, v3, v5
	v_mad_u64_u32 v[2:3], s[0:1], v5, s27, v[2:3]
	v_mad_u64_u32 v[6:7], s[0:1], v5, s36, v[6:7]
	v_mad_u64_u32 v[4:5], s[0:1], v5, s37, v[4:5]
	s_branch .LBB2_2
.LBB2_13:
	s_endpgm
	.section	.rodata,"a",@progbits
	.p2align	6, 0x0
	.amdhsa_kernel _ZN2at6native12cross_kernelIa16OffsetCalculatorILi3EjLb0EElEEviPT_PKS4_S7_T0_T1_S9_S9_
		.amdhsa_group_segment_fixed_size 0
		.amdhsa_private_segment_fixed_size 0
		.amdhsa_kernarg_size 704
		.amdhsa_user_sgpr_count 6
		.amdhsa_user_sgpr_private_segment_buffer 1
		.amdhsa_user_sgpr_dispatch_ptr 0
		.amdhsa_user_sgpr_queue_ptr 0
		.amdhsa_user_sgpr_kernarg_segment_ptr 1
		.amdhsa_user_sgpr_dispatch_id 0
		.amdhsa_user_sgpr_flat_scratch_init 0
		.amdhsa_user_sgpr_kernarg_preload_length 0
		.amdhsa_user_sgpr_kernarg_preload_offset 0
		.amdhsa_user_sgpr_private_segment_size 0
		.amdhsa_uses_dynamic_stack 0
		.amdhsa_system_sgpr_private_segment_wavefront_offset 0
		.amdhsa_system_sgpr_workgroup_id_x 1
		.amdhsa_system_sgpr_workgroup_id_y 0
		.amdhsa_system_sgpr_workgroup_id_z 0
		.amdhsa_system_sgpr_workgroup_info 0
		.amdhsa_system_vgpr_workitem_id 0
		.amdhsa_next_free_vgpr 25
		.amdhsa_next_free_sgpr 60
		.amdhsa_accum_offset 28
		.amdhsa_reserve_vcc 1
		.amdhsa_reserve_flat_scratch 0
		.amdhsa_float_round_mode_32 0
		.amdhsa_float_round_mode_16_64 0
		.amdhsa_float_denorm_mode_32 3
		.amdhsa_float_denorm_mode_16_64 3
		.amdhsa_dx10_clamp 1
		.amdhsa_ieee_mode 1
		.amdhsa_fp16_overflow 0
		.amdhsa_tg_split 0
		.amdhsa_exception_fp_ieee_invalid_op 0
		.amdhsa_exception_fp_denorm_src 0
		.amdhsa_exception_fp_ieee_div_zero 0
		.amdhsa_exception_fp_ieee_overflow 0
		.amdhsa_exception_fp_ieee_underflow 0
		.amdhsa_exception_fp_ieee_inexact 0
		.amdhsa_exception_int_div_zero 0
	.end_amdhsa_kernel
	.section	.text._ZN2at6native12cross_kernelIa16OffsetCalculatorILi3EjLb0EElEEviPT_PKS4_S7_T0_T1_S9_S9_,"axG",@progbits,_ZN2at6native12cross_kernelIa16OffsetCalculatorILi3EjLb0EElEEviPT_PKS4_S7_T0_T1_S9_S9_,comdat
.Lfunc_end2:
	.size	_ZN2at6native12cross_kernelIa16OffsetCalculatorILi3EjLb0EElEEviPT_PKS4_S7_T0_T1_S9_S9_, .Lfunc_end2-_ZN2at6native12cross_kernelIa16OffsetCalculatorILi3EjLb0EElEEviPT_PKS4_S7_T0_T1_S9_S9_
                                        ; -- End function
	.section	.AMDGPU.csdata,"",@progbits
; Kernel info:
; codeLenInByte = 960
; NumSgprs: 64
; NumVgprs: 25
; NumAgprs: 0
; TotalNumVgprs: 25
; ScratchSize: 0
; MemoryBound: 0
; FloatMode: 240
; IeeeMode: 1
; LDSByteSize: 0 bytes/workgroup (compile time only)
; SGPRBlocks: 7
; VGPRBlocks: 3
; NumSGPRsForWavesPerEU: 64
; NumVGPRsForWavesPerEU: 25
; AccumOffset: 28
; Occupancy: 8
; WaveLimiterHint : 1
; COMPUTE_PGM_RSRC2:SCRATCH_EN: 0
; COMPUTE_PGM_RSRC2:USER_SGPR: 6
; COMPUTE_PGM_RSRC2:TRAP_HANDLER: 0
; COMPUTE_PGM_RSRC2:TGID_X_EN: 1
; COMPUTE_PGM_RSRC2:TGID_Y_EN: 0
; COMPUTE_PGM_RSRC2:TGID_Z_EN: 0
; COMPUTE_PGM_RSRC2:TIDIG_COMP_CNT: 0
; COMPUTE_PGM_RSRC3_GFX90A:ACCUM_OFFSET: 6
; COMPUTE_PGM_RSRC3_GFX90A:TG_SPLIT: 0
	.section	.text._ZN2at6native12cross_kernelIa16OffsetCalculatorILi3EjLb0EEiEEviPT_PKS4_S7_T0_T1_S9_S9_,"axG",@progbits,_ZN2at6native12cross_kernelIa16OffsetCalculatorILi3EjLb0EEiEEviPT_PKS4_S7_T0_T1_S9_S9_,comdat
	.protected	_ZN2at6native12cross_kernelIa16OffsetCalculatorILi3EjLb0EEiEEviPT_PKS4_S7_T0_T1_S9_S9_ ; -- Begin function _ZN2at6native12cross_kernelIa16OffsetCalculatorILi3EjLb0EEiEEviPT_PKS4_S7_T0_T1_S9_S9_
	.globl	_ZN2at6native12cross_kernelIa16OffsetCalculatorILi3EjLb0EEiEEviPT_PKS4_S7_T0_T1_S9_S9_
	.p2align	8
	.type	_ZN2at6native12cross_kernelIa16OffsetCalculatorILi3EjLb0EEiEEviPT_PKS4_S7_T0_T1_S9_S9_,@function
_ZN2at6native12cross_kernelIa16OffsetCalculatorILi3EjLb0EEiEEviPT_PKS4_S7_T0_T1_S9_S9_: ; @_ZN2at6native12cross_kernelIa16OffsetCalculatorILi3EjLb0EEiEEviPT_PKS4_S7_T0_T1_S9_S9_
; %bb.0:
	s_load_dword s2, s[4:5], 0x0
	s_load_dword s7, s[4:5], 0x1bc
	v_mov_b32_e32 v1, 0
	v_mov_b32_e32 v2, s6
	s_waitcnt lgkmcnt(0)
	s_ashr_i32 s3, s2, 31
	s_add_u32 s0, s4, 0x1b0
	s_addc_u32 s1, s5, 0
	s_and_b32 s33, s7, 0xffff
	v_mad_u64_u32 v[0:1], s[6:7], s33, v2, v[0:1]
	v_cmp_gt_i64_e32 vcc, s[2:3], v[0:1]
	s_and_saveexec_b64 s[6:7], vcc
	s_cbranch_execz .LBB3_13
; %bb.1:
	s_load_dwordx8 s[8:15], s[4:5], 0x20
	s_load_dwordx4 s[16:19], s[4:5], 0x8
	s_load_dwordx2 s[6:7], s[4:5], 0x18
	s_load_dwordx4 s[20:23], s[4:5], 0x1a4
	s_load_dword s38, s[0:1], 0x0
	s_waitcnt lgkmcnt(0)
	s_add_i32 s0, s8, -1
	s_load_dwordx4 s[24:27], s[4:5], 0xe4
	s_load_dwordx2 s[34:35], s[4:5], 0xf4
	s_cmp_gt_u32 s0, 1
	s_cselect_b64 s[28:29], -1, 0
	s_cmp_lg_u32 s8, 0
	s_cselect_b64 s[30:31], -1, 0
	s_min_u32 s0, s0, 15
	s_cmp_gt_u32 s8, 1
	s_waitcnt lgkmcnt(0)
	s_mov_b32 s15, s25
	s_cselect_b64 s[36:37], -1, 0
	s_lshl_b32 s25, s22, 1
	s_mul_i32 s33, s38, s33
	s_add_i32 s38, s0, 1
	s_ashr_i32 s43, s21, 31
	s_ashr_i32 s44, s25, 31
	;; [unrolled: 1-line block ×4, first 2 shown]
	s_and_b32 s42, s38, 30
	s_bitcmp0_b32 s0, 0
	s_mov_b32 s1, 0
	s_cselect_b64 s[38:39], -1, 0
	s_add_u32 s4, s4, 12
	s_mov_b32 s23, s26
	s_mov_b32 s8, s13
	;; [unrolled: 1-line block ×4, first 2 shown]
	s_addc_u32 s5, s5, 0
	s_mov_b64 s[40:41], 0
	v_mov_b32_e32 v8, s17
	v_mov_b32_e32 v9, s19
	v_mov_b32_e32 v10, s7
	v_mov_b32_e32 v11, s43
	v_mov_b32_e32 v12, s44
	v_mov_b32_e32 v13, s43
	v_mov_b32_e32 v14, s45
	v_mov_b32_e32 v15, s46
	v_mov_b32_e32 v16, s46
	v_mov_b32_e32 v17, s1
	s_branch .LBB3_3
.LBB3_2:                                ;   in Loop: Header=BB3_3 Depth=1
	v_add_co_u32_e32 v3, vcc, s18, v6
	v_addc_co_u32_e32 v5, vcc, 0, v9, vcc
	v_add_co_u32_e32 v7, vcc, s6, v4
	v_addc_co_u32_e32 v22, vcc, 0, v10, vcc
	v_add_co_u32_e32 v18, vcc, s13, v3
	v_addc_co_u32_e32 v19, vcc, v5, v11, vcc
	v_add_co_u32_e32 v20, vcc, s25, v7
	v_addc_co_u32_e32 v21, vcc, v22, v12, vcc
	global_load_ubyte v3, v[18:19], off
	v_add_co_u32_e32 v18, vcc, s21, v18
	v_addc_co_u32_e32 v19, vcc, v19, v13, vcc
	global_load_ubyte v23, v[20:21], off
	v_add_co_u32_e32 v20, vcc, s22, v7
	v_addc_co_u32_e32 v21, vcc, v22, v14, vcc
	global_load_ubyte v22, v6, s[18:19]
	global_load_ubyte v24, v[20:21], off
	global_load_ubyte v25, v4, s[6:7]
	global_load_ubyte v26, v[18:19], off
	v_add_co_u32_e32 v4, vcc, s16, v2
	v_addc_co_u32_e32 v5, vcc, 0, v8, vcc
	v_add_co_u32_e32 v0, vcc, s33, v0
	v_addc_co_u32_e32 v1, vcc, v1, v17, vcc
	;; [unrolled: 2-line block ×3, first 2 shown]
	v_cmp_le_i64_e32 vcc, s[2:3], v[0:1]
	v_add_co_u32_e64 v6, s[0:1], s20, v4
	s_or_b64 s[40:41], vcc, s[40:41]
	v_addc_co_u32_e64 v7, s[0:1], v5, v16, s[0:1]
	s_waitcnt vmcnt(4)
	v_mul_lo_u16_e32 v18, v23, v3
	s_waitcnt vmcnt(3)
	v_mul_lo_u16_e32 v19, v22, v23
	;; [unrolled: 2-line block ×5, first 2 shown]
	v_mul_lo_u16_e32 v22, v25, v26
	v_sub_u16_e32 v18, v18, v21
	v_sub_u16_e32 v3, v20, v3
	;; [unrolled: 1-line block ×3, first 2 shown]
	global_store_byte v2, v18, s[16:17]
	global_store_byte v[4:5], v19, off
	global_store_byte v[6:7], v3, off
	s_andn2_b64 exec, exec, s[40:41]
	s_cbranch_execz .LBB3_13
.LBB3_3:                                ; =>This Loop Header: Depth=1
                                        ;     Child Loop BB3_6 Depth 2
	s_andn2_b64 vcc, exec, s[28:29]
	s_cbranch_vccnz .LBB3_10
; %bb.4:                                ;   in Loop: Header=BB3_3 Depth=1
	s_andn2_b64 vcc, exec, s[30:31]
	v_mov_b32_e32 v4, 0
	v_mov_b32_e32 v6, 0
	;; [unrolled: 1-line block ×3, first 2 shown]
	s_cbranch_vccnz .LBB3_9
; %bb.5:                                ;   in Loop: Header=BB3_3 Depth=1
	v_mov_b32_e32 v2, 0
	s_mov_b32 s43, s42
	s_mov_b64 s[0:1], s[4:5]
	v_mov_b32_e32 v3, v0
	v_mov_b32_e32 v6, 0
	;; [unrolled: 1-line block ×3, first 2 shown]
.LBB3_6:                                ;   Parent Loop BB3_3 Depth=1
                                        ; =>  This Inner Loop Header: Depth=2
	s_mov_b64 s[52:53], s[0:1]
	s_load_dwordx4 s[44:47], s[52:53], 0x18
	s_load_dwordx2 s[54:55], s[52:53], 0x28
	s_load_dwordx2 s[56:57], s[52:53], 0xe8
	s_load_dwordx4 s[48:51], s[52:53], 0xd8
	s_add_u32 s0, s52, 24
	s_waitcnt lgkmcnt(0)
	v_mul_hi_u32 v5, s45, v3
	v_add_u32_e32 v5, v3, v5
	v_lshrrev_b32_e32 v5, s46, v5
	v_mul_lo_u32 v7, v5, s44
	v_mul_hi_u32 v18, s54, v5
	v_sub_u32_e32 v3, v3, v7
	v_add_u32_e32 v7, v5, v18
	v_mul_lo_u32 v18, v3, s48
	v_mul_lo_u32 v19, v3, s49
	v_mul_lo_u32 v20, v3, s50
	v_lshrrev_b32_e32 v3, s55, v7
	v_mul_lo_u32 v7, v3, s47
	v_sub_u32_e32 v5, v5, v7
	s_addc_u32 s1, s53, 0
	s_add_i32 s43, s43, -2
	v_mul_lo_u32 v7, v5, s51
	v_mul_lo_u32 v21, v5, s56
	;; [unrolled: 1-line block ×3, first 2 shown]
	s_cmp_lg_u32 s43, 0
	v_add3_u32 v2, v18, v2, v7
	v_add3_u32 v4, v20, v4, v5
	;; [unrolled: 1-line block ×3, first 2 shown]
	s_cbranch_scc1 .LBB3_6
; %bb.7:                                ;   in Loop: Header=BB3_3 Depth=1
	s_andn2_b64 vcc, exec, s[38:39]
	s_cbranch_vccnz .LBB3_9
; %bb.8:                                ;   in Loop: Header=BB3_3 Depth=1
	s_load_dwordx2 s[44:45], s[0:1], 0x18
	s_load_dword s43, s[0:1], 0x20
	s_load_dword s46, s[0:1], 0xe0
	s_nop 0
	s_load_dwordx2 s[0:1], s[0:1], 0xd8
	s_waitcnt lgkmcnt(0)
	v_mul_hi_u32 v5, s45, v3
	v_add_u32_e32 v5, v3, v5
	v_lshrrev_b32_e32 v5, s43, v5
	v_mul_lo_u32 v5, v5, s44
	v_sub_u32_e32 v5, v3, v5
	v_mad_u64_u32 v[2:3], s[44:45], v5, s0, v[2:3]
	v_mad_u64_u32 v[6:7], s[0:1], v5, s1, v[6:7]
	;; [unrolled: 1-line block ×3, first 2 shown]
.LBB3_9:                                ;   in Loop: Header=BB3_3 Depth=1
	s_cbranch_execnz .LBB3_2
	s_branch .LBB3_11
.LBB3_10:                               ;   in Loop: Header=BB3_3 Depth=1
                                        ; implicit-def: $vgpr4
                                        ; implicit-def: $vgpr6
                                        ; implicit-def: $vgpr2
.LBB3_11:                               ;   in Loop: Header=BB3_3 Depth=1
	v_mul_hi_u32 v2, v0, s10
	v_add_u32_e32 v2, v2, v0
	v_lshrrev_b32_e32 v3, s11, v2
	v_mul_lo_u32 v2, v3, s9
	v_sub_u32_e32 v5, v0, v2
	v_mul_lo_u32 v2, v5, s24
	v_mul_lo_u32 v4, v5, s23
	s_andn2_b64 vcc, exec, s[36:37]
	v_mul_lo_u32 v6, v5, s15
	s_cbranch_vccnz .LBB3_2
; %bb.12:                               ;   in Loop: Header=BB3_3 Depth=1
	v_mul_hi_u32 v5, s8, v3
	v_add_u32_e32 v5, v3, v5
	v_lshrrev_b32_e32 v5, s14, v5
	v_mul_lo_u32 v5, v5, s12
	v_sub_u32_e32 v5, v3, v5
	v_mad_u64_u32 v[2:3], s[0:1], v5, s27, v[2:3]
	v_mad_u64_u32 v[6:7], s[0:1], v5, s34, v[6:7]
	;; [unrolled: 1-line block ×3, first 2 shown]
	s_branch .LBB3_2
.LBB3_13:
	s_endpgm
	.section	.rodata,"a",@progbits
	.p2align	6, 0x0
	.amdhsa_kernel _ZN2at6native12cross_kernelIa16OffsetCalculatorILi3EjLb0EEiEEviPT_PKS4_S7_T0_T1_S9_S9_
		.amdhsa_group_segment_fixed_size 0
		.amdhsa_private_segment_fixed_size 0
		.amdhsa_kernarg_size 688
		.amdhsa_user_sgpr_count 6
		.amdhsa_user_sgpr_private_segment_buffer 1
		.amdhsa_user_sgpr_dispatch_ptr 0
		.amdhsa_user_sgpr_queue_ptr 0
		.amdhsa_user_sgpr_kernarg_segment_ptr 1
		.amdhsa_user_sgpr_dispatch_id 0
		.amdhsa_user_sgpr_flat_scratch_init 0
		.amdhsa_user_sgpr_kernarg_preload_length 0
		.amdhsa_user_sgpr_kernarg_preload_offset 0
		.amdhsa_user_sgpr_private_segment_size 0
		.amdhsa_uses_dynamic_stack 0
		.amdhsa_system_sgpr_private_segment_wavefront_offset 0
		.amdhsa_system_sgpr_workgroup_id_x 1
		.amdhsa_system_sgpr_workgroup_id_y 0
		.amdhsa_system_sgpr_workgroup_id_z 0
		.amdhsa_system_sgpr_workgroup_info 0
		.amdhsa_system_vgpr_workitem_id 0
		.amdhsa_next_free_vgpr 27
		.amdhsa_next_free_sgpr 58
		.amdhsa_accum_offset 28
		.amdhsa_reserve_vcc 1
		.amdhsa_reserve_flat_scratch 0
		.amdhsa_float_round_mode_32 0
		.amdhsa_float_round_mode_16_64 0
		.amdhsa_float_denorm_mode_32 3
		.amdhsa_float_denorm_mode_16_64 3
		.amdhsa_dx10_clamp 1
		.amdhsa_ieee_mode 1
		.amdhsa_fp16_overflow 0
		.amdhsa_tg_split 0
		.amdhsa_exception_fp_ieee_invalid_op 0
		.amdhsa_exception_fp_denorm_src 0
		.amdhsa_exception_fp_ieee_div_zero 0
		.amdhsa_exception_fp_ieee_overflow 0
		.amdhsa_exception_fp_ieee_underflow 0
		.amdhsa_exception_fp_ieee_inexact 0
		.amdhsa_exception_int_div_zero 0
	.end_amdhsa_kernel
	.section	.text._ZN2at6native12cross_kernelIa16OffsetCalculatorILi3EjLb0EEiEEviPT_PKS4_S7_T0_T1_S9_S9_,"axG",@progbits,_ZN2at6native12cross_kernelIa16OffsetCalculatorILi3EjLb0EEiEEviPT_PKS4_S7_T0_T1_S9_S9_,comdat
.Lfunc_end3:
	.size	_ZN2at6native12cross_kernelIa16OffsetCalculatorILi3EjLb0EEiEEviPT_PKS4_S7_T0_T1_S9_S9_, .Lfunc_end3-_ZN2at6native12cross_kernelIa16OffsetCalculatorILi3EjLb0EEiEEviPT_PKS4_S7_T0_T1_S9_S9_
                                        ; -- End function
	.section	.AMDGPU.csdata,"",@progbits
; Kernel info:
; codeLenInByte = 988
; NumSgprs: 62
; NumVgprs: 27
; NumAgprs: 0
; TotalNumVgprs: 27
; ScratchSize: 0
; MemoryBound: 0
; FloatMode: 240
; IeeeMode: 1
; LDSByteSize: 0 bytes/workgroup (compile time only)
; SGPRBlocks: 7
; VGPRBlocks: 3
; NumSGPRsForWavesPerEU: 62
; NumVGPRsForWavesPerEU: 27
; AccumOffset: 28
; Occupancy: 8
; WaveLimiterHint : 1
; COMPUTE_PGM_RSRC2:SCRATCH_EN: 0
; COMPUTE_PGM_RSRC2:USER_SGPR: 6
; COMPUTE_PGM_RSRC2:TRAP_HANDLER: 0
; COMPUTE_PGM_RSRC2:TGID_X_EN: 1
; COMPUTE_PGM_RSRC2:TGID_Y_EN: 0
; COMPUTE_PGM_RSRC2:TGID_Z_EN: 0
; COMPUTE_PGM_RSRC2:TIDIG_COMP_CNT: 0
; COMPUTE_PGM_RSRC3_GFX90A:ACCUM_OFFSET: 6
; COMPUTE_PGM_RSRC3_GFX90A:TG_SPLIT: 0
	.section	.text._ZN2at6native12cross_kernelIi16OffsetCalculatorILi3EjLb0EElEEviPT_PKS4_S7_T0_T1_S9_S9_,"axG",@progbits,_ZN2at6native12cross_kernelIi16OffsetCalculatorILi3EjLb0EElEEviPT_PKS4_S7_T0_T1_S9_S9_,comdat
	.protected	_ZN2at6native12cross_kernelIi16OffsetCalculatorILi3EjLb0EElEEviPT_PKS4_S7_T0_T1_S9_S9_ ; -- Begin function _ZN2at6native12cross_kernelIi16OffsetCalculatorILi3EjLb0EElEEviPT_PKS4_S7_T0_T1_S9_S9_
	.globl	_ZN2at6native12cross_kernelIi16OffsetCalculatorILi3EjLb0EElEEviPT_PKS4_S7_T0_T1_S9_S9_
	.p2align	8
	.type	_ZN2at6native12cross_kernelIi16OffsetCalculatorILi3EjLb0EElEEviPT_PKS4_S7_T0_T1_S9_S9_,@function
_ZN2at6native12cross_kernelIi16OffsetCalculatorILi3EjLb0EElEEviPT_PKS4_S7_T0_T1_S9_S9_: ; @_ZN2at6native12cross_kernelIi16OffsetCalculatorILi3EjLb0EElEEviPT_PKS4_S7_T0_T1_S9_S9_
; %bb.0:
	s_load_dword s24, s[4:5], 0x0
	s_load_dword s0, s[4:5], 0x1cc
	v_mov_b32_e32 v1, 0
	v_mov_b32_e32 v2, s6
	s_waitcnt lgkmcnt(0)
	s_ashr_i32 s25, s24, 31
	s_add_u32 s20, s4, 0x1c0
	s_addc_u32 s21, s5, 0
	s_and_b32 s33, s0, 0xffff
	v_mad_u64_u32 v[2:3], s[0:1], s33, v2, v[0:1]
	v_cmp_gt_i64_e32 vcc, s[24:25], v[2:3]
	s_and_saveexec_b64 s[0:1], vcc
	s_cbranch_execz .LBB4_13
; %bb.1:
	s_load_dwordx8 s[8:15], s[4:5], 0x20
	s_load_dwordx4 s[16:19], s[4:5], 0x8
	s_load_dwordx2 s[6:7], s[4:5], 0x18
	s_load_dwordx2 s[40:41], s[4:5], 0x1b8
	s_load_dwordx4 s[0:3], s[4:5], 0x1a8
	s_load_dword s38, s[20:21], 0x0
	s_waitcnt lgkmcnt(0)
	s_add_i32 s15, s8, -1
	s_load_dwordx4 s[20:23], s[4:5], 0xe4
	s_load_dwordx2 s[30:31], s[4:5], 0xf4
	s_cmp_gt_u32 s15, 1
	s_cselect_b64 s[26:27], -1, 0
	s_cmp_lg_u32 s8, 0
	s_cselect_b64 s[28:29], -1, 0
	s_min_u32 s39, s15, 15
	s_cmp_gt_u32 s8, 1
	s_waitcnt lgkmcnt(0)
	s_mov_b32 s15, s21
	s_mov_b32 s21, s22
	s_cselect_b64 s[34:35], -1, 0
	s_add_i32 s22, s39, 1
	s_lshl_b64 s[36:37], s[40:41], 3
	s_and_b32 s22, s22, 30
	s_bitcmp0_b32 s39, 0
	s_mov_b32 s8, s13
	s_mul_i32 s13, s38, s33
	s_cselect_b64 s[38:39], -1, 0
	s_lshl_b64 s[2:3], s[2:3], 2
	s_lshl_b64 s[42:43], s[40:41], 2
	s_sub_u32 s33, 0, s42
	s_subb_u32 s45, 0, s43
	s_lshl_b64 s[42:43], s[0:1], 2
	s_mov_b32 s44, 0
	s_add_u32 s4, s4, 12
	s_mov_b64 s[40:41], 0
	s_addc_u32 s5, s5, 0
	v_mov_b32_e32 v8, s17
	v_mov_b32_e32 v9, s19
	;; [unrolled: 1-line block ×8, first 2 shown]
	s_branch .LBB4_3
.LBB4_2:                                ;   in Loop: Header=BB4_3 Depth=1
	v_mov_b32_e32 v7, v1
	v_lshlrev_b64 v[6:7], 2, v[6:7]
	v_add_co_u32_e32 v6, vcc, s18, v6
	v_mov_b32_e32 v5, v1
	v_addc_co_u32_e32 v7, vcc, v9, v7, vcc
	v_lshlrev_b64 v[4:5], 2, v[4:5]
	v_add_co_u32_e32 v4, vcc, s6, v4
	v_addc_co_u32_e32 v5, vcc, v10, v5, vcc
	v_add_co_u32_e32 v16, vcc, s2, v6
	v_addc_co_u32_e32 v17, vcc, v7, v11, vcc
	;; [unrolled: 2-line block ×3, first 2 shown]
	global_load_dword v20, v[16:17], off
	v_add_co_u32_e32 v16, vcc, s2, v16
	v_addc_co_u32_e32 v17, vcc, v17, v11, vcc
	global_load_dword v22, v[16:17], off
	v_add_co_u32_e32 v16, vcc, s33, v18
	global_load_dword v21, v[18:19], off
	v_addc_co_u32_e32 v17, vcc, v19, v13, vcc
	global_load_dword v18, v[6:7], off
	global_load_dword v19, v[4:5], off
	;; [unrolled: 1-line block ×3, first 2 shown]
	v_add_co_u32_e32 v2, vcc, s13, v2
	v_lshlrev_b64 v[4:5], 2, v[0:1]
	v_addc_co_u32_e32 v3, vcc, v3, v15, vcc
	v_add_co_u32_e32 v4, vcc, s16, v4
	v_addc_co_u32_e32 v5, vcc, v8, v5, vcc
	v_cmp_le_i64_e32 vcc, s[24:25], v[2:3]
	v_add_co_u32_e64 v6, s[0:1], s42, v4
	v_addc_co_u32_e64 v7, s[0:1], v5, v14, s[0:1]
	s_or_b64 s[40:41], vcc, s[40:41]
	v_add_co_u32_e32 v16, vcc, s42, v6
	v_addc_co_u32_e32 v17, vcc, v7, v14, vcc
	s_waitcnt vmcnt(3)
	v_mul_lo_u32 v0, v21, v20
	s_waitcnt vmcnt(2)
	v_mul_lo_u32 v21, v18, v21
	;; [unrolled: 2-line block ×4, first 2 shown]
	v_mul_lo_u32 v19, v19, v22
	v_mul_lo_u32 v18, v18, v23
	v_sub_u32_e32 v0, v0, v24
	v_sub_u32_e32 v19, v19, v21
	;; [unrolled: 1-line block ×3, first 2 shown]
	global_store_dword v[4:5], v0, off
	global_store_dword v[6:7], v19, off
	global_store_dword v[16:17], v18, off
	s_andn2_b64 exec, exec, s[40:41]
	s_cbranch_execz .LBB4_13
.LBB4_3:                                ; =>This Loop Header: Depth=1
                                        ;     Child Loop BB4_6 Depth 2
	s_andn2_b64 vcc, exec, s[26:27]
	s_cbranch_vccnz .LBB4_10
; %bb.4:                                ;   in Loop: Header=BB4_3 Depth=1
	s_andn2_b64 vcc, exec, s[28:29]
	v_mov_b32_e32 v4, 0
	v_mov_b32_e32 v6, 0
	;; [unrolled: 1-line block ×3, first 2 shown]
	s_cbranch_vccnz .LBB4_9
; %bb.5:                                ;   in Loop: Header=BB4_3 Depth=1
	v_mov_b32_e32 v0, 0
	s_mov_b32 s3, s22
	s_mov_b64 s[0:1], s[4:5]
	v_mov_b32_e32 v5, v2
	v_mov_b32_e32 v6, v0
	;; [unrolled: 1-line block ×3, first 2 shown]
.LBB4_6:                                ;   Parent Loop BB4_3 Depth=1
                                        ; =>  This Inner Loop Header: Depth=2
	s_mov_b64 s[52:53], s[0:1]
	s_load_dwordx4 s[44:47], s[52:53], 0x18
	s_load_dwordx2 s[54:55], s[52:53], 0x28
	s_load_dwordx2 s[56:57], s[52:53], 0xe8
	s_load_dwordx4 s[48:51], s[52:53], 0xd8
	s_add_u32 s0, s52, 24
	s_waitcnt lgkmcnt(0)
	v_mul_hi_u32 v7, s45, v5
	v_add_u32_e32 v7, v5, v7
	v_lshrrev_b32_e32 v7, s46, v7
	v_mul_lo_u32 v16, v7, s44
	v_mul_hi_u32 v17, s54, v7
	v_sub_u32_e32 v5, v5, v16
	v_add_u32_e32 v16, v7, v17
	v_mul_lo_u32 v17, v5, s48
	v_mul_lo_u32 v18, v5, s49
	;; [unrolled: 1-line block ×3, first 2 shown]
	v_lshrrev_b32_e32 v5, s55, v16
	v_mul_lo_u32 v16, v5, s47
	v_sub_u32_e32 v7, v7, v16
	s_addc_u32 s1, s53, 0
	s_add_i32 s3, s3, -2
	v_mul_lo_u32 v16, v7, s51
	v_mul_lo_u32 v20, v7, s56
	;; [unrolled: 1-line block ×3, first 2 shown]
	s_cmp_lg_u32 s3, 0
	v_add3_u32 v0, v17, v0, v16
	v_add3_u32 v4, v19, v4, v7
	;; [unrolled: 1-line block ×3, first 2 shown]
	s_cbranch_scc1 .LBB4_6
; %bb.7:                                ;   in Loop: Header=BB4_3 Depth=1
	s_andn2_b64 vcc, exec, s[38:39]
	s_cbranch_vccnz .LBB4_9
; %bb.8:                                ;   in Loop: Header=BB4_3 Depth=1
	s_load_dwordx2 s[44:45], s[0:1], 0x18
	s_load_dword s3, s[0:1], 0x20
	s_load_dword s7, s[0:1], 0xe0
	s_load_dwordx2 s[46:47], s[0:1], 0xd8
	s_waitcnt lgkmcnt(0)
	v_mul_hi_u32 v7, s45, v5
	v_add_u32_e32 v7, v5, v7
	v_lshrrev_b32_e32 v7, s3, v7
	v_mul_lo_u32 v7, v7, s44
	v_sub_u32_e32 v5, v5, v7
	v_mad_u64_u32 v[16:17], s[0:1], v5, s46, v[0:1]
	v_mad_u64_u32 v[6:7], s[0:1], v5, s47, v[6:7]
	;; [unrolled: 1-line block ×3, first 2 shown]
	v_mov_b32_e32 v0, v16
.LBB4_9:                                ;   in Loop: Header=BB4_3 Depth=1
	s_cbranch_execnz .LBB4_2
	s_branch .LBB4_11
.LBB4_10:                               ;   in Loop: Header=BB4_3 Depth=1
                                        ; implicit-def: $vgpr4
                                        ; implicit-def: $vgpr6
.LBB4_11:                               ;   in Loop: Header=BB4_3 Depth=1
	v_mul_hi_u32 v0, v2, s10
	v_add_u32_e32 v0, v0, v2
	v_lshrrev_b32_e32 v5, s11, v0
	v_mul_lo_u32 v0, v5, s9
	v_sub_u32_e32 v6, v2, v0
	v_mul_lo_u32 v0, v6, s20
	v_mul_lo_u32 v4, v6, s21
	s_andn2_b64 vcc, exec, s[34:35]
	v_mul_lo_u32 v6, v6, s15
	s_cbranch_vccnz .LBB4_2
; %bb.12:                               ;   in Loop: Header=BB4_3 Depth=1
	v_mul_hi_u32 v7, s8, v5
	v_add_u32_e32 v7, v5, v7
	v_lshrrev_b32_e32 v7, s14, v7
	v_mul_lo_u32 v7, v7, s12
	v_sub_u32_e32 v5, v5, v7
	v_mad_u64_u32 v[16:17], s[0:1], v5, s23, v[0:1]
	v_mad_u64_u32 v[6:7], s[0:1], v5, s30, v[6:7]
	;; [unrolled: 1-line block ×3, first 2 shown]
	v_mov_b32_e32 v0, v16
	s_branch .LBB4_2
.LBB4_13:
	s_endpgm
	.section	.rodata,"a",@progbits
	.p2align	6, 0x0
	.amdhsa_kernel _ZN2at6native12cross_kernelIi16OffsetCalculatorILi3EjLb0EElEEviPT_PKS4_S7_T0_T1_S9_S9_
		.amdhsa_group_segment_fixed_size 0
		.amdhsa_private_segment_fixed_size 0
		.amdhsa_kernarg_size 704
		.amdhsa_user_sgpr_count 6
		.amdhsa_user_sgpr_private_segment_buffer 1
		.amdhsa_user_sgpr_dispatch_ptr 0
		.amdhsa_user_sgpr_queue_ptr 0
		.amdhsa_user_sgpr_kernarg_segment_ptr 1
		.amdhsa_user_sgpr_dispatch_id 0
		.amdhsa_user_sgpr_flat_scratch_init 0
		.amdhsa_user_sgpr_kernarg_preload_length 0
		.amdhsa_user_sgpr_kernarg_preload_offset 0
		.amdhsa_user_sgpr_private_segment_size 0
		.amdhsa_uses_dynamic_stack 0
		.amdhsa_system_sgpr_private_segment_wavefront_offset 0
		.amdhsa_system_sgpr_workgroup_id_x 1
		.amdhsa_system_sgpr_workgroup_id_y 0
		.amdhsa_system_sgpr_workgroup_id_z 0
		.amdhsa_system_sgpr_workgroup_info 0
		.amdhsa_system_vgpr_workitem_id 0
		.amdhsa_next_free_vgpr 25
		.amdhsa_next_free_sgpr 58
		.amdhsa_accum_offset 28
		.amdhsa_reserve_vcc 1
		.amdhsa_reserve_flat_scratch 0
		.amdhsa_float_round_mode_32 0
		.amdhsa_float_round_mode_16_64 0
		.amdhsa_float_denorm_mode_32 3
		.amdhsa_float_denorm_mode_16_64 3
		.amdhsa_dx10_clamp 1
		.amdhsa_ieee_mode 1
		.amdhsa_fp16_overflow 0
		.amdhsa_tg_split 0
		.amdhsa_exception_fp_ieee_invalid_op 0
		.amdhsa_exception_fp_denorm_src 0
		.amdhsa_exception_fp_ieee_div_zero 0
		.amdhsa_exception_fp_ieee_overflow 0
		.amdhsa_exception_fp_ieee_underflow 0
		.amdhsa_exception_fp_ieee_inexact 0
		.amdhsa_exception_int_div_zero 0
	.end_amdhsa_kernel
	.section	.text._ZN2at6native12cross_kernelIi16OffsetCalculatorILi3EjLb0EElEEviPT_PKS4_S7_T0_T1_S9_S9_,"axG",@progbits,_ZN2at6native12cross_kernelIi16OffsetCalculatorILi3EjLb0EElEEviPT_PKS4_S7_T0_T1_S9_S9_,comdat
.Lfunc_end4:
	.size	_ZN2at6native12cross_kernelIi16OffsetCalculatorILi3EjLb0EElEEviPT_PKS4_S7_T0_T1_S9_S9_, .Lfunc_end4-_ZN2at6native12cross_kernelIi16OffsetCalculatorILi3EjLb0EElEEviPT_PKS4_S7_T0_T1_S9_S9_
                                        ; -- End function
	.section	.AMDGPU.csdata,"",@progbits
; Kernel info:
; codeLenInByte = 1040
; NumSgprs: 62
; NumVgprs: 25
; NumAgprs: 0
; TotalNumVgprs: 25
; ScratchSize: 0
; MemoryBound: 0
; FloatMode: 240
; IeeeMode: 1
; LDSByteSize: 0 bytes/workgroup (compile time only)
; SGPRBlocks: 7
; VGPRBlocks: 3
; NumSGPRsForWavesPerEU: 62
; NumVGPRsForWavesPerEU: 25
; AccumOffset: 28
; Occupancy: 8
; WaveLimiterHint : 1
; COMPUTE_PGM_RSRC2:SCRATCH_EN: 0
; COMPUTE_PGM_RSRC2:USER_SGPR: 6
; COMPUTE_PGM_RSRC2:TRAP_HANDLER: 0
; COMPUTE_PGM_RSRC2:TGID_X_EN: 1
; COMPUTE_PGM_RSRC2:TGID_Y_EN: 0
; COMPUTE_PGM_RSRC2:TGID_Z_EN: 0
; COMPUTE_PGM_RSRC2:TIDIG_COMP_CNT: 0
; COMPUTE_PGM_RSRC3_GFX90A:ACCUM_OFFSET: 6
; COMPUTE_PGM_RSRC3_GFX90A:TG_SPLIT: 0
	.section	.text._ZN2at6native12cross_kernelIi16OffsetCalculatorILi3EjLb0EEiEEviPT_PKS4_S7_T0_T1_S9_S9_,"axG",@progbits,_ZN2at6native12cross_kernelIi16OffsetCalculatorILi3EjLb0EEiEEviPT_PKS4_S7_T0_T1_S9_S9_,comdat
	.protected	_ZN2at6native12cross_kernelIi16OffsetCalculatorILi3EjLb0EEiEEviPT_PKS4_S7_T0_T1_S9_S9_ ; -- Begin function _ZN2at6native12cross_kernelIi16OffsetCalculatorILi3EjLb0EEiEEviPT_PKS4_S7_T0_T1_S9_S9_
	.globl	_ZN2at6native12cross_kernelIi16OffsetCalculatorILi3EjLb0EEiEEviPT_PKS4_S7_T0_T1_S9_S9_
	.p2align	8
	.type	_ZN2at6native12cross_kernelIi16OffsetCalculatorILi3EjLb0EEiEEviPT_PKS4_S7_T0_T1_S9_S9_,@function
_ZN2at6native12cross_kernelIi16OffsetCalculatorILi3EjLb0EEiEEviPT_PKS4_S7_T0_T1_S9_S9_: ; @_ZN2at6native12cross_kernelIi16OffsetCalculatorILi3EjLb0EEiEEviPT_PKS4_S7_T0_T1_S9_S9_
; %bb.0:
	s_load_dword s24, s[4:5], 0x0
	s_load_dword s0, s[4:5], 0x1bc
	v_mov_b32_e32 v1, 0
	v_mov_b32_e32 v2, s6
	s_waitcnt lgkmcnt(0)
	s_ashr_i32 s25, s24, 31
	s_add_u32 s20, s4, 0x1b0
	s_addc_u32 s21, s5, 0
	s_and_b32 s33, s0, 0xffff
	v_mad_u64_u32 v[2:3], s[0:1], s33, v2, v[0:1]
	v_cmp_gt_i64_e32 vcc, s[24:25], v[2:3]
	s_and_saveexec_b64 s[0:1], vcc
	s_cbranch_execz .LBB5_13
; %bb.1:
	s_load_dwordx8 s[8:15], s[4:5], 0x20
	s_load_dwordx4 s[16:19], s[4:5], 0x8
	s_load_dwordx2 s[6:7], s[4:5], 0x18
	s_load_dwordx4 s[0:3], s[4:5], 0x1a4
	s_waitcnt lgkmcnt(0)
	s_load_dword s3, s[20:21], 0x0
	s_add_i32 s15, s8, -1
                                        ; kill: killed $sgpr20 killed $sgpr21
	s_cmp_gt_u32 s15, 1
	s_load_dwordx4 s[20:23], s[4:5], 0xe4
	s_load_dwordx2 s[30:31], s[4:5], 0xf4
	s_cselect_b64 s[26:27], -1, 0
	s_cmp_lg_u32 s8, 0
	s_cselect_b64 s[28:29], -1, 0
	s_min_u32 s36, s15, 15
	s_cmp_gt_u32 s8, 1
	s_cselect_b64 s[34:35], -1, 0
	s_mov_b32 s8, s13
	s_lshl_b32 s42, s2, 1
	s_waitcnt lgkmcnt(0)
	s_mul_i32 s13, s3, s33
	s_add_i32 s3, s36, 1
	s_mov_b32 s15, s21
	s_mov_b32 s21, s22
	s_ashr_i32 s39, s1, 31
	s_mov_b32 s38, s1
	s_ashr_i32 s43, s42, 31
	s_ashr_i32 s1, s0, 31
	s_and_b32 s22, s3, 30
	s_bitcmp0_b32 s36, 0
	s_cselect_b64 s[36:37], -1, 0
	s_ashr_i32 s3, s2, 31
	s_lshl_b64 s[38:39], s[38:39], 2
	s_lshl_b64 s[40:41], s[2:3], 2
	s_sub_u32 s33, 0, s40
	s_subb_u32 s45, 0, s41
	s_lshl_b64 s[40:41], s[0:1], 2
	s_add_u32 s4, s4, 12
	s_mov_b32 s44, 0
	s_addc_u32 s5, s5, 0
	s_lshl_b64 s[42:43], s[42:43], 2
	s_mov_b64 s[2:3], 0
	v_mov_b32_e32 v8, s17
	v_mov_b32_e32 v9, s19
	;; [unrolled: 1-line block ×8, first 2 shown]
	s_branch .LBB5_3
.LBB5_2:                                ;   in Loop: Header=BB5_3 Depth=1
	v_mov_b32_e32 v7, v1
	v_lshlrev_b64 v[6:7], 2, v[6:7]
	v_add_co_u32_e32 v6, vcc, s18, v6
	v_mov_b32_e32 v5, v1
	v_addc_co_u32_e32 v7, vcc, v9, v7, vcc
	v_lshlrev_b64 v[4:5], 2, v[4:5]
	v_add_co_u32_e32 v4, vcc, s6, v4
	v_addc_co_u32_e32 v5, vcc, v10, v5, vcc
	v_add_co_u32_e32 v16, vcc, s38, v6
	v_addc_co_u32_e32 v17, vcc, v7, v11, vcc
	v_add_co_u32_e32 v18, vcc, s42, v4
	v_addc_co_u32_e32 v19, vcc, v5, v12, vcc
	global_load_dword v20, v[16:17], off
	v_add_co_u32_e32 v16, vcc, s38, v16
	v_addc_co_u32_e32 v17, vcc, v17, v11, vcc
	global_load_dword v22, v[16:17], off
	v_add_co_u32_e32 v16, vcc, s33, v18
	global_load_dword v21, v[18:19], off
	v_addc_co_u32_e32 v17, vcc, v19, v13, vcc
	global_load_dword v18, v[6:7], off
	global_load_dword v19, v[4:5], off
	;; [unrolled: 1-line block ×3, first 2 shown]
	v_add_co_u32_e32 v2, vcc, s13, v2
	v_lshlrev_b64 v[4:5], 2, v[0:1]
	v_addc_co_u32_e32 v3, vcc, v3, v15, vcc
	v_add_co_u32_e32 v4, vcc, s16, v4
	v_addc_co_u32_e32 v5, vcc, v8, v5, vcc
	v_cmp_le_i64_e32 vcc, s[24:25], v[2:3]
	v_add_co_u32_e64 v6, s[0:1], s40, v4
	v_addc_co_u32_e64 v7, s[0:1], v5, v14, s[0:1]
	s_or_b64 s[2:3], vcc, s[2:3]
	v_add_co_u32_e32 v16, vcc, s40, v6
	v_addc_co_u32_e32 v17, vcc, v7, v14, vcc
	s_waitcnt vmcnt(3)
	v_mul_lo_u32 v0, v21, v20
	s_waitcnt vmcnt(2)
	v_mul_lo_u32 v21, v18, v21
	;; [unrolled: 2-line block ×4, first 2 shown]
	v_mul_lo_u32 v19, v19, v22
	v_mul_lo_u32 v18, v18, v23
	v_sub_u32_e32 v0, v0, v24
	v_sub_u32_e32 v19, v19, v21
	;; [unrolled: 1-line block ×3, first 2 shown]
	global_store_dword v[4:5], v0, off
	global_store_dword v[6:7], v19, off
	;; [unrolled: 1-line block ×3, first 2 shown]
	s_andn2_b64 exec, exec, s[2:3]
	s_cbranch_execz .LBB5_13
.LBB5_3:                                ; =>This Loop Header: Depth=1
                                        ;     Child Loop BB5_6 Depth 2
	s_andn2_b64 vcc, exec, s[26:27]
	s_cbranch_vccnz .LBB5_10
; %bb.4:                                ;   in Loop: Header=BB5_3 Depth=1
	s_andn2_b64 vcc, exec, s[28:29]
	v_mov_b32_e32 v4, 0
	v_mov_b32_e32 v6, 0
	v_mov_b32_e32 v0, 0
	s_cbranch_vccnz .LBB5_9
; %bb.5:                                ;   in Loop: Header=BB5_3 Depth=1
	v_mov_b32_e32 v0, 0
	s_mov_b32 s7, s22
	s_mov_b64 s[0:1], s[4:5]
	v_mov_b32_e32 v5, v2
	v_mov_b32_e32 v6, v0
	;; [unrolled: 1-line block ×3, first 2 shown]
.LBB5_6:                                ;   Parent Loop BB5_3 Depth=1
                                        ; =>  This Inner Loop Header: Depth=2
	s_mov_b64 s[52:53], s[0:1]
	s_load_dwordx4 s[44:47], s[52:53], 0x18
	s_load_dwordx2 s[54:55], s[52:53], 0x28
	s_load_dwordx2 s[56:57], s[52:53], 0xe8
	s_load_dwordx4 s[48:51], s[52:53], 0xd8
	s_add_u32 s0, s52, 24
	s_waitcnt lgkmcnt(0)
	v_mul_hi_u32 v7, s45, v5
	v_add_u32_e32 v7, v5, v7
	v_lshrrev_b32_e32 v7, s46, v7
	v_mul_lo_u32 v16, v7, s44
	v_mul_hi_u32 v17, s54, v7
	v_sub_u32_e32 v5, v5, v16
	v_add_u32_e32 v16, v7, v17
	v_mul_lo_u32 v17, v5, s48
	v_mul_lo_u32 v18, v5, s49
	;; [unrolled: 1-line block ×3, first 2 shown]
	v_lshrrev_b32_e32 v5, s55, v16
	v_mul_lo_u32 v16, v5, s47
	v_sub_u32_e32 v7, v7, v16
	s_addc_u32 s1, s53, 0
	s_add_i32 s7, s7, -2
	v_mul_lo_u32 v16, v7, s51
	v_mul_lo_u32 v20, v7, s56
	;; [unrolled: 1-line block ×3, first 2 shown]
	s_cmp_lg_u32 s7, 0
	v_add3_u32 v0, v17, v0, v16
	v_add3_u32 v4, v19, v4, v7
	;; [unrolled: 1-line block ×3, first 2 shown]
	s_cbranch_scc1 .LBB5_6
; %bb.7:                                ;   in Loop: Header=BB5_3 Depth=1
	s_andn2_b64 vcc, exec, s[36:37]
	s_cbranch_vccnz .LBB5_9
; %bb.8:                                ;   in Loop: Header=BB5_3 Depth=1
	s_load_dwordx2 s[44:45], s[0:1], 0x18
	s_load_dword s7, s[0:1], 0x20
	s_load_dword s17, s[0:1], 0xe0
	s_load_dwordx2 s[46:47], s[0:1], 0xd8
	s_waitcnt lgkmcnt(0)
	v_mul_hi_u32 v7, s45, v5
	v_add_u32_e32 v7, v5, v7
	v_lshrrev_b32_e32 v7, s7, v7
	v_mul_lo_u32 v7, v7, s44
	v_sub_u32_e32 v5, v5, v7
	v_mad_u64_u32 v[16:17], s[0:1], v5, s46, v[0:1]
	v_mad_u64_u32 v[6:7], s[0:1], v5, s47, v[6:7]
	;; [unrolled: 1-line block ×3, first 2 shown]
	v_mov_b32_e32 v0, v16
.LBB5_9:                                ;   in Loop: Header=BB5_3 Depth=1
	s_cbranch_execnz .LBB5_2
	s_branch .LBB5_11
.LBB5_10:                               ;   in Loop: Header=BB5_3 Depth=1
                                        ; implicit-def: $vgpr4
                                        ; implicit-def: $vgpr6
.LBB5_11:                               ;   in Loop: Header=BB5_3 Depth=1
	v_mul_hi_u32 v0, v2, s10
	v_add_u32_e32 v0, v0, v2
	v_lshrrev_b32_e32 v5, s11, v0
	v_mul_lo_u32 v0, v5, s9
	v_sub_u32_e32 v6, v2, v0
	v_mul_lo_u32 v0, v6, s20
	v_mul_lo_u32 v4, v6, s21
	s_andn2_b64 vcc, exec, s[34:35]
	v_mul_lo_u32 v6, v6, s15
	s_cbranch_vccnz .LBB5_2
; %bb.12:                               ;   in Loop: Header=BB5_3 Depth=1
	v_mul_hi_u32 v7, s8, v5
	v_add_u32_e32 v7, v5, v7
	v_lshrrev_b32_e32 v7, s14, v7
	v_mul_lo_u32 v7, v7, s12
	v_sub_u32_e32 v5, v5, v7
	v_mad_u64_u32 v[16:17], s[0:1], v5, s23, v[0:1]
	v_mad_u64_u32 v[6:7], s[0:1], v5, s30, v[6:7]
	;; [unrolled: 1-line block ×3, first 2 shown]
	v_mov_b32_e32 v0, v16
	s_branch .LBB5_2
.LBB5_13:
	s_endpgm
	.section	.rodata,"a",@progbits
	.p2align	6, 0x0
	.amdhsa_kernel _ZN2at6native12cross_kernelIi16OffsetCalculatorILi3EjLb0EEiEEviPT_PKS4_S7_T0_T1_S9_S9_
		.amdhsa_group_segment_fixed_size 0
		.amdhsa_private_segment_fixed_size 0
		.amdhsa_kernarg_size 688
		.amdhsa_user_sgpr_count 6
		.amdhsa_user_sgpr_private_segment_buffer 1
		.amdhsa_user_sgpr_dispatch_ptr 0
		.amdhsa_user_sgpr_queue_ptr 0
		.amdhsa_user_sgpr_kernarg_segment_ptr 1
		.amdhsa_user_sgpr_dispatch_id 0
		.amdhsa_user_sgpr_flat_scratch_init 0
		.amdhsa_user_sgpr_kernarg_preload_length 0
		.amdhsa_user_sgpr_kernarg_preload_offset 0
		.amdhsa_user_sgpr_private_segment_size 0
		.amdhsa_uses_dynamic_stack 0
		.amdhsa_system_sgpr_private_segment_wavefront_offset 0
		.amdhsa_system_sgpr_workgroup_id_x 1
		.amdhsa_system_sgpr_workgroup_id_y 0
		.amdhsa_system_sgpr_workgroup_id_z 0
		.amdhsa_system_sgpr_workgroup_info 0
		.amdhsa_system_vgpr_workitem_id 0
		.amdhsa_next_free_vgpr 25
		.amdhsa_next_free_sgpr 58
		.amdhsa_accum_offset 28
		.amdhsa_reserve_vcc 1
		.amdhsa_reserve_flat_scratch 0
		.amdhsa_float_round_mode_32 0
		.amdhsa_float_round_mode_16_64 0
		.amdhsa_float_denorm_mode_32 3
		.amdhsa_float_denorm_mode_16_64 3
		.amdhsa_dx10_clamp 1
		.amdhsa_ieee_mode 1
		.amdhsa_fp16_overflow 0
		.amdhsa_tg_split 0
		.amdhsa_exception_fp_ieee_invalid_op 0
		.amdhsa_exception_fp_denorm_src 0
		.amdhsa_exception_fp_ieee_div_zero 0
		.amdhsa_exception_fp_ieee_overflow 0
		.amdhsa_exception_fp_ieee_underflow 0
		.amdhsa_exception_fp_ieee_inexact 0
		.amdhsa_exception_int_div_zero 0
	.end_amdhsa_kernel
	.section	.text._ZN2at6native12cross_kernelIi16OffsetCalculatorILi3EjLb0EEiEEviPT_PKS4_S7_T0_T1_S9_S9_,"axG",@progbits,_ZN2at6native12cross_kernelIi16OffsetCalculatorILi3EjLb0EEiEEviPT_PKS4_S7_T0_T1_S9_S9_,comdat
.Lfunc_end5:
	.size	_ZN2at6native12cross_kernelIi16OffsetCalculatorILi3EjLb0EEiEEviPT_PKS4_S7_T0_T1_S9_S9_, .Lfunc_end5-_ZN2at6native12cross_kernelIi16OffsetCalculatorILi3EjLb0EEiEEviPT_PKS4_S7_T0_T1_S9_S9_
                                        ; -- End function
	.section	.AMDGPU.csdata,"",@progbits
; Kernel info:
; codeLenInByte = 1056
; NumSgprs: 62
; NumVgprs: 25
; NumAgprs: 0
; TotalNumVgprs: 25
; ScratchSize: 0
; MemoryBound: 0
; FloatMode: 240
; IeeeMode: 1
; LDSByteSize: 0 bytes/workgroup (compile time only)
; SGPRBlocks: 7
; VGPRBlocks: 3
; NumSGPRsForWavesPerEU: 62
; NumVGPRsForWavesPerEU: 25
; AccumOffset: 28
; Occupancy: 8
; WaveLimiterHint : 1
; COMPUTE_PGM_RSRC2:SCRATCH_EN: 0
; COMPUTE_PGM_RSRC2:USER_SGPR: 6
; COMPUTE_PGM_RSRC2:TRAP_HANDLER: 0
; COMPUTE_PGM_RSRC2:TGID_X_EN: 1
; COMPUTE_PGM_RSRC2:TGID_Y_EN: 0
; COMPUTE_PGM_RSRC2:TGID_Z_EN: 0
; COMPUTE_PGM_RSRC2:TIDIG_COMP_CNT: 0
; COMPUTE_PGM_RSRC3_GFX90A:ACCUM_OFFSET: 6
; COMPUTE_PGM_RSRC3_GFX90A:TG_SPLIT: 0
	.section	.text._ZN2at6native12cross_kernelIl16OffsetCalculatorILi3EjLb0EElEEviPT_PKS4_S7_T0_T1_S9_S9_,"axG",@progbits,_ZN2at6native12cross_kernelIl16OffsetCalculatorILi3EjLb0EElEEviPT_PKS4_S7_T0_T1_S9_S9_,comdat
	.protected	_ZN2at6native12cross_kernelIl16OffsetCalculatorILi3EjLb0EElEEviPT_PKS4_S7_T0_T1_S9_S9_ ; -- Begin function _ZN2at6native12cross_kernelIl16OffsetCalculatorILi3EjLb0EElEEviPT_PKS4_S7_T0_T1_S9_S9_
	.globl	_ZN2at6native12cross_kernelIl16OffsetCalculatorILi3EjLb0EElEEviPT_PKS4_S7_T0_T1_S9_S9_
	.p2align	8
	.type	_ZN2at6native12cross_kernelIl16OffsetCalculatorILi3EjLb0EElEEviPT_PKS4_S7_T0_T1_S9_S9_,@function
_ZN2at6native12cross_kernelIl16OffsetCalculatorILi3EjLb0EElEEviPT_PKS4_S7_T0_T1_S9_S9_: ; @_ZN2at6native12cross_kernelIl16OffsetCalculatorILi3EjLb0EElEEviPT_PKS4_S7_T0_T1_S9_S9_
; %bb.0:
	s_load_dword s24, s[4:5], 0x0
	s_load_dword s0, s[4:5], 0x1cc
	v_mov_b32_e32 v1, 0
	v_mov_b32_e32 v2, s6
	s_waitcnt lgkmcnt(0)
	s_ashr_i32 s25, s24, 31
	s_add_u32 s16, s4, 0x1c0
	s_addc_u32 s17, s5, 0
	s_and_b32 s33, s0, 0xffff
	v_mad_u64_u32 v[2:3], s[0:1], s33, v2, v[0:1]
	v_cmp_gt_i64_e32 vcc, s[24:25], v[2:3]
	s_and_saveexec_b64 s[0:1], vcc
	s_cbranch_execz .LBB6_13
; %bb.1:
	s_load_dwordx8 s[8:15], s[4:5], 0x20
	s_load_dwordx4 s[0:3], s[4:5], 0x8
	s_load_dwordx2 s[6:7], s[4:5], 0x18
	s_load_dwordx2 s[40:41], s[4:5], 0x1b8
	s_load_dwordx4 s[20:23], s[4:5], 0x1a8
	s_load_dword s38, s[16:17], 0x0
	s_waitcnt lgkmcnt(0)
	s_add_i32 s15, s8, -1
	s_load_dwordx4 s[16:19], s[4:5], 0xe4
	s_load_dwordx2 s[30:31], s[4:5], 0xf4
	s_cmp_gt_u32 s15, 1
	s_cselect_b64 s[26:27], -1, 0
	s_cmp_lg_u32 s8, 0
	s_cselect_b64 s[28:29], -1, 0
	s_min_u32 s39, s15, 15
	s_cmp_gt_u32 s8, 1
	s_waitcnt lgkmcnt(0)
	s_mov_b32 s15, s17
	s_mov_b32 s17, s18
	s_cselect_b64 s[34:35], -1, 0
	s_add_i32 s18, s39, 1
	s_lshl_b64 s[36:37], s[40:41], 4
	s_and_b32 s18, s18, 30
	s_bitcmp0_b32 s39, 0
	s_mov_b32 s8, s13
	s_mul_i32 s13, s38, s33
	s_cselect_b64 s[38:39], -1, 0
	s_lshl_b64 s[22:23], s[22:23], 3
	s_lshl_b64 s[42:43], s[40:41], 3
	s_sub_u32 s33, 0, s42
	s_subb_u32 s42, 0, s43
	s_lshl_b64 s[20:21], s[20:21], 3
	s_mov_b32 s44, 0
	s_add_u32 s4, s4, 12
	s_mov_b64 s[40:41], 0
	s_addc_u32 s5, s5, 0
	v_mov_b32_e32 v8, s1
	v_mov_b32_e32 v9, s3
	;; [unrolled: 1-line block ×8, first 2 shown]
	s_branch .LBB6_3
.LBB6_2:                                ;   in Loop: Header=BB6_3 Depth=1
	v_mov_b32_e32 v7, v1
	v_lshlrev_b64 v[6:7], 3, v[6:7]
	v_add_co_u32_e32 v6, vcc, s2, v6
	v_mov_b32_e32 v5, v1
	v_addc_co_u32_e32 v7, vcc, v9, v7, vcc
	v_lshlrev_b64 v[4:5], 3, v[4:5]
	v_add_co_u32_e32 v4, vcc, s6, v4
	v_addc_co_u32_e32 v5, vcc, v10, v5, vcc
	v_add_co_u32_e32 v16, vcc, s22, v6
	v_addc_co_u32_e32 v17, vcc, v7, v11, vcc
	;; [unrolled: 2-line block ×3, first 2 shown]
	global_load_dwordx2 v[18:19], v[16:17], off
	global_load_dwordx2 v[22:23], v[20:21], off
	;; [unrolled: 1-line block ×3, first 2 shown]
	v_add_co_u32_e32 v6, vcc, s22, v16
	v_addc_co_u32_e32 v7, vcc, v17, v11, vcc
	global_load_dwordx2 v[16:17], v[6:7], off
	global_load_dwordx2 v[26:27], v[4:5], off
	v_add_co_u32_e32 v4, vcc, s33, v20
	v_addc_co_u32_e32 v5, vcc, v21, v13, vcc
	global_load_dwordx2 v[4:5], v[4:5], off
	v_lshlrev_b64 v[6:7], 3, v[0:1]
	v_add_co_u32_e32 v6, vcc, s0, v6
	v_addc_co_u32_e32 v7, vcc, v8, v7, vcc
	v_add_co_u32_e32 v20, vcc, s20, v6
	v_addc_co_u32_e32 v21, vcc, v7, v14, vcc
	s_waitcnt vmcnt(4)
	v_mul_lo_u32 v0, v23, v18
	v_mul_lo_u32 v30, v22, v19
	v_mad_u64_u32 v[28:29], s[42:43], v22, v18, 0
	v_add3_u32 v0, v29, v30, v0
	s_waitcnt vmcnt(3)
	v_mul_lo_u32 v32, v25, v22
	v_mul_lo_u32 v33, v24, v23
	v_mad_u64_u32 v[22:23], s[42:43], v24, v22, 0
	s_waitcnt vmcnt(1)
	v_mul_lo_u32 v34, v27, v18
	v_mul_lo_u32 v35, v26, v19
	s_waitcnt vmcnt(0)
	v_mul_lo_u32 v29, v5, v16
	v_mul_lo_u32 v36, v4, v17
	v_mad_u64_u32 v[30:31], s[42:43], v4, v16, 0
	v_mad_u64_u32 v[18:19], s[42:43], v26, v18, 0
	v_mul_lo_u32 v27, v27, v16
	v_mul_lo_u32 v37, v26, v17
	v_mad_u64_u32 v[16:17], s[42:43], v26, v16, 0
	v_mul_lo_u32 v25, v25, v4
	v_mul_lo_u32 v26, v24, v5
	v_mad_u64_u32 v[4:5], s[42:43], v24, v4, 0
	v_add3_u32 v29, v31, v36, v29
	v_sub_co_u32_e32 v24, vcc, v28, v30
	v_add3_u32 v5, v5, v26, v25
	v_subb_co_u32_e32 v25, vcc, v0, v29, vcc
	v_add3_u32 v23, v23, v33, v32
	v_add3_u32 v17, v17, v37, v27
	v_sub_co_u32_e32 v16, vcc, v16, v22
	v_subb_co_u32_e32 v17, vcc, v17, v23, vcc
	v_add3_u32 v19, v19, v35, v34
	v_sub_co_u32_e32 v4, vcc, v4, v18
	v_subb_co_u32_e32 v5, vcc, v5, v19, vcc
	global_store_dwordx2 v[6:7], v[24:25], off
	global_store_dwordx2 v[20:21], v[16:17], off
	v_add_co_u32_e32 v6, vcc, s20, v20
	v_addc_co_u32_e32 v7, vcc, v21, v14, vcc
	v_add_co_u32_e32 v2, vcc, s13, v2
	v_addc_co_u32_e32 v3, vcc, v3, v15, vcc
	v_cmp_le_i64_e32 vcc, s[24:25], v[2:3]
	s_or_b64 s[40:41], vcc, s[40:41]
	global_store_dwordx2 v[6:7], v[4:5], off
	s_andn2_b64 exec, exec, s[40:41]
	s_cbranch_execz .LBB6_13
.LBB6_3:                                ; =>This Loop Header: Depth=1
                                        ;     Child Loop BB6_6 Depth 2
	s_andn2_b64 vcc, exec, s[26:27]
	s_cbranch_vccnz .LBB6_10
; %bb.4:                                ;   in Loop: Header=BB6_3 Depth=1
	s_andn2_b64 vcc, exec, s[28:29]
	v_mov_b32_e32 v4, 0
	v_mov_b32_e32 v6, 0
	;; [unrolled: 1-line block ×3, first 2 shown]
	s_cbranch_vccnz .LBB6_9
; %bb.5:                                ;   in Loop: Header=BB6_3 Depth=1
	v_mov_b32_e32 v0, 0
	s_mov_b32 s1, s18
	s_mov_b64 s[42:43], s[4:5]
	v_mov_b32_e32 v5, v2
	v_mov_b32_e32 v6, v0
	;; [unrolled: 1-line block ×3, first 2 shown]
.LBB6_6:                                ;   Parent Loop BB6_3 Depth=1
                                        ; =>  This Inner Loop Header: Depth=2
	s_mov_b64 s[52:53], s[42:43]
	s_load_dwordx4 s[44:47], s[52:53], 0x18
	s_load_dwordx2 s[54:55], s[52:53], 0x28
	s_load_dwordx2 s[56:57], s[52:53], 0xe8
	s_load_dwordx4 s[48:51], s[52:53], 0xd8
	s_add_u32 s42, s52, 24
	s_waitcnt lgkmcnt(0)
	v_mul_hi_u32 v7, s45, v5
	v_add_u32_e32 v7, v5, v7
	v_lshrrev_b32_e32 v7, s46, v7
	v_mul_lo_u32 v16, v7, s44
	v_mul_hi_u32 v17, s54, v7
	v_sub_u32_e32 v5, v5, v16
	v_add_u32_e32 v16, v7, v17
	v_mul_lo_u32 v17, v5, s48
	v_mul_lo_u32 v18, v5, s49
	;; [unrolled: 1-line block ×3, first 2 shown]
	v_lshrrev_b32_e32 v5, s55, v16
	v_mul_lo_u32 v16, v5, s47
	v_sub_u32_e32 v7, v7, v16
	s_addc_u32 s43, s53, 0
	s_add_i32 s1, s1, -2
	v_mul_lo_u32 v16, v7, s51
	v_mul_lo_u32 v20, v7, s56
	;; [unrolled: 1-line block ×3, first 2 shown]
	s_cmp_lg_u32 s1, 0
	v_add3_u32 v0, v17, v0, v16
	v_add3_u32 v4, v19, v4, v7
	;; [unrolled: 1-line block ×3, first 2 shown]
	s_cbranch_scc1 .LBB6_6
; %bb.7:                                ;   in Loop: Header=BB6_3 Depth=1
	s_andn2_b64 vcc, exec, s[38:39]
	s_cbranch_vccnz .LBB6_9
; %bb.8:                                ;   in Loop: Header=BB6_3 Depth=1
	s_load_dwordx2 s[44:45], s[42:43], 0x18
	s_load_dword s1, s[42:43], 0x20
	s_load_dword s3, s[42:43], 0xe0
	s_load_dwordx2 s[46:47], s[42:43], 0xd8
	s_waitcnt lgkmcnt(0)
	v_mul_hi_u32 v7, s45, v5
	v_add_u32_e32 v7, v5, v7
	v_lshrrev_b32_e32 v7, s1, v7
	v_mul_lo_u32 v7, v7, s44
	v_sub_u32_e32 v5, v5, v7
	v_mad_u64_u32 v[16:17], s[42:43], v5, s46, v[0:1]
	v_mad_u64_u32 v[6:7], s[42:43], v5, s47, v[6:7]
	;; [unrolled: 1-line block ×3, first 2 shown]
	v_mov_b32_e32 v0, v16
.LBB6_9:                                ;   in Loop: Header=BB6_3 Depth=1
	s_cbranch_execnz .LBB6_2
	s_branch .LBB6_11
.LBB6_10:                               ;   in Loop: Header=BB6_3 Depth=1
                                        ; implicit-def: $vgpr4
                                        ; implicit-def: $vgpr6
.LBB6_11:                               ;   in Loop: Header=BB6_3 Depth=1
	v_mul_hi_u32 v0, v2, s10
	v_add_u32_e32 v0, v0, v2
	v_lshrrev_b32_e32 v5, s11, v0
	v_mul_lo_u32 v0, v5, s9
	v_sub_u32_e32 v6, v2, v0
	v_mul_lo_u32 v0, v6, s16
	v_mul_lo_u32 v4, v6, s17
	s_andn2_b64 vcc, exec, s[34:35]
	v_mul_lo_u32 v6, v6, s15
	s_cbranch_vccnz .LBB6_2
; %bb.12:                               ;   in Loop: Header=BB6_3 Depth=1
	v_mul_hi_u32 v7, s8, v5
	v_add_u32_e32 v7, v5, v7
	v_lshrrev_b32_e32 v7, s14, v7
	v_mul_lo_u32 v7, v7, s12
	v_sub_u32_e32 v5, v5, v7
	v_mad_u64_u32 v[16:17], s[42:43], v5, s19, v[0:1]
	v_mad_u64_u32 v[6:7], s[42:43], v5, s30, v[6:7]
	;; [unrolled: 1-line block ×3, first 2 shown]
	v_mov_b32_e32 v0, v16
	s_branch .LBB6_2
.LBB6_13:
	s_endpgm
	.section	.rodata,"a",@progbits
	.p2align	6, 0x0
	.amdhsa_kernel _ZN2at6native12cross_kernelIl16OffsetCalculatorILi3EjLb0EElEEviPT_PKS4_S7_T0_T1_S9_S9_
		.amdhsa_group_segment_fixed_size 0
		.amdhsa_private_segment_fixed_size 0
		.amdhsa_kernarg_size 704
		.amdhsa_user_sgpr_count 6
		.amdhsa_user_sgpr_private_segment_buffer 1
		.amdhsa_user_sgpr_dispatch_ptr 0
		.amdhsa_user_sgpr_queue_ptr 0
		.amdhsa_user_sgpr_kernarg_segment_ptr 1
		.amdhsa_user_sgpr_dispatch_id 0
		.amdhsa_user_sgpr_flat_scratch_init 0
		.amdhsa_user_sgpr_kernarg_preload_length 0
		.amdhsa_user_sgpr_kernarg_preload_offset 0
		.amdhsa_user_sgpr_private_segment_size 0
		.amdhsa_uses_dynamic_stack 0
		.amdhsa_system_sgpr_private_segment_wavefront_offset 0
		.amdhsa_system_sgpr_workgroup_id_x 1
		.amdhsa_system_sgpr_workgroup_id_y 0
		.amdhsa_system_sgpr_workgroup_id_z 0
		.amdhsa_system_sgpr_workgroup_info 0
		.amdhsa_system_vgpr_workitem_id 0
		.amdhsa_next_free_vgpr 38
		.amdhsa_next_free_sgpr 58
		.amdhsa_accum_offset 40
		.amdhsa_reserve_vcc 1
		.amdhsa_reserve_flat_scratch 0
		.amdhsa_float_round_mode_32 0
		.amdhsa_float_round_mode_16_64 0
		.amdhsa_float_denorm_mode_32 3
		.amdhsa_float_denorm_mode_16_64 3
		.amdhsa_dx10_clamp 1
		.amdhsa_ieee_mode 1
		.amdhsa_fp16_overflow 0
		.amdhsa_tg_split 0
		.amdhsa_exception_fp_ieee_invalid_op 0
		.amdhsa_exception_fp_denorm_src 0
		.amdhsa_exception_fp_ieee_div_zero 0
		.amdhsa_exception_fp_ieee_overflow 0
		.amdhsa_exception_fp_ieee_underflow 0
		.amdhsa_exception_fp_ieee_inexact 0
		.amdhsa_exception_int_div_zero 0
	.end_amdhsa_kernel
	.section	.text._ZN2at6native12cross_kernelIl16OffsetCalculatorILi3EjLb0EElEEviPT_PKS4_S7_T0_T1_S9_S9_,"axG",@progbits,_ZN2at6native12cross_kernelIl16OffsetCalculatorILi3EjLb0EElEEviPT_PKS4_S7_T0_T1_S9_S9_,comdat
.Lfunc_end6:
	.size	_ZN2at6native12cross_kernelIl16OffsetCalculatorILi3EjLb0EElEEviPT_PKS4_S7_T0_T1_S9_S9_, .Lfunc_end6-_ZN2at6native12cross_kernelIl16OffsetCalculatorILi3EjLb0EElEEviPT_PKS4_S7_T0_T1_S9_S9_
                                        ; -- End function
	.section	.AMDGPU.csdata,"",@progbits
; Kernel info:
; codeLenInByte = 1188
; NumSgprs: 62
; NumVgprs: 38
; NumAgprs: 0
; TotalNumVgprs: 38
; ScratchSize: 0
; MemoryBound: 0
; FloatMode: 240
; IeeeMode: 1
; LDSByteSize: 0 bytes/workgroup (compile time only)
; SGPRBlocks: 7
; VGPRBlocks: 4
; NumSGPRsForWavesPerEU: 62
; NumVGPRsForWavesPerEU: 38
; AccumOffset: 40
; Occupancy: 8
; WaveLimiterHint : 1
; COMPUTE_PGM_RSRC2:SCRATCH_EN: 0
; COMPUTE_PGM_RSRC2:USER_SGPR: 6
; COMPUTE_PGM_RSRC2:TRAP_HANDLER: 0
; COMPUTE_PGM_RSRC2:TGID_X_EN: 1
; COMPUTE_PGM_RSRC2:TGID_Y_EN: 0
; COMPUTE_PGM_RSRC2:TGID_Z_EN: 0
; COMPUTE_PGM_RSRC2:TIDIG_COMP_CNT: 0
; COMPUTE_PGM_RSRC3_GFX90A:ACCUM_OFFSET: 9
; COMPUTE_PGM_RSRC3_GFX90A:TG_SPLIT: 0
	.section	.text._ZN2at6native12cross_kernelIl16OffsetCalculatorILi3EjLb0EEiEEviPT_PKS4_S7_T0_T1_S9_S9_,"axG",@progbits,_ZN2at6native12cross_kernelIl16OffsetCalculatorILi3EjLb0EEiEEviPT_PKS4_S7_T0_T1_S9_S9_,comdat
	.protected	_ZN2at6native12cross_kernelIl16OffsetCalculatorILi3EjLb0EEiEEviPT_PKS4_S7_T0_T1_S9_S9_ ; -- Begin function _ZN2at6native12cross_kernelIl16OffsetCalculatorILi3EjLb0EEiEEviPT_PKS4_S7_T0_T1_S9_S9_
	.globl	_ZN2at6native12cross_kernelIl16OffsetCalculatorILi3EjLb0EEiEEviPT_PKS4_S7_T0_T1_S9_S9_
	.p2align	8
	.type	_ZN2at6native12cross_kernelIl16OffsetCalculatorILi3EjLb0EEiEEviPT_PKS4_S7_T0_T1_S9_S9_,@function
_ZN2at6native12cross_kernelIl16OffsetCalculatorILi3EjLb0EEiEEviPT_PKS4_S7_T0_T1_S9_S9_: ; @_ZN2at6native12cross_kernelIl16OffsetCalculatorILi3EjLb0EEiEEviPT_PKS4_S7_T0_T1_S9_S9_
; %bb.0:
	s_load_dword s24, s[4:5], 0x0
	s_load_dword s0, s[4:5], 0x1bc
	v_mov_b32_e32 v1, 0
	v_mov_b32_e32 v2, s6
	s_waitcnt lgkmcnt(0)
	s_ashr_i32 s25, s24, 31
	s_add_u32 s16, s4, 0x1b0
	s_addc_u32 s17, s5, 0
	s_and_b32 s33, s0, 0xffff
	v_mad_u64_u32 v[2:3], s[0:1], s33, v2, v[0:1]
	v_cmp_gt_i64_e32 vcc, s[24:25], v[2:3]
	s_and_saveexec_b64 s[0:1], vcc
	s_cbranch_execz .LBB7_13
; %bb.1:
	s_load_dwordx8 s[8:15], s[4:5], 0x20
	s_load_dwordx4 s[0:3], s[4:5], 0x8
	s_load_dwordx2 s[6:7], s[4:5], 0x18
	s_load_dwordx4 s[20:23], s[4:5], 0x1a4
	s_waitcnt lgkmcnt(0)
	s_load_dword s23, s[16:17], 0x0
                                        ; kill: killed $sgpr16 killed $sgpr17
	s_add_i32 s15, s8, -1
	s_load_dwordx4 s[16:19], s[4:5], 0xe4
	s_load_dwordx2 s[30:31], s[4:5], 0xf4
	s_cmp_gt_u32 s15, 1
	s_cselect_b64 s[26:27], -1, 0
	s_cmp_lg_u32 s8, 0
	s_cselect_b64 s[28:29], -1, 0
	s_min_u32 s36, s15, 15
	s_cmp_gt_u32 s8, 1
	s_waitcnt lgkmcnt(0)
	s_mov_b32 s15, s17
	s_mov_b32 s17, s18
	s_cselect_b64 s[34:35], -1, 0
	s_lshl_b32 s40, s22, 1
	s_add_i32 s18, s36, 1
	s_ashr_i32 s39, s21, 31
	s_mov_b32 s38, s21
	s_ashr_i32 s41, s40, 31
	s_ashr_i32 s21, s20, 31
	s_and_b32 s18, s18, 30
	s_bitcmp0_b32 s36, 0
	s_mov_b32 s8, s13
	s_mul_i32 s13, s23, s33
	s_cselect_b64 s[36:37], -1, 0
	s_ashr_i32 s23, s22, 31
	s_lshl_b64 s[38:39], s[38:39], 3
	s_lshl_b64 s[42:43], s[22:23], 3
	s_sub_u32 s33, 0, s42
	s_subb_u32 s42, 0, s43
	s_lshl_b64 s[20:21], s[20:21], 3
	s_add_u32 s4, s4, 12
	s_mov_b32 s44, 0
	s_addc_u32 s5, s5, 0
	s_lshl_b64 s[40:41], s[40:41], 3
	s_mov_b64 s[22:23], 0
	v_mov_b32_e32 v8, s1
	v_mov_b32_e32 v9, s3
	v_mov_b32_e32 v10, s7
	v_mov_b32_e32 v11, s39
	v_mov_b32_e32 v12, s41
	v_mov_b32_e32 v13, s42
	v_mov_b32_e32 v14, s21
	v_mov_b32_e32 v15, s44
	s_branch .LBB7_3
.LBB7_2:                                ;   in Loop: Header=BB7_3 Depth=1
	v_mov_b32_e32 v7, v1
	v_lshlrev_b64 v[6:7], 3, v[6:7]
	v_add_co_u32_e32 v6, vcc, s2, v6
	v_mov_b32_e32 v5, v1
	v_addc_co_u32_e32 v7, vcc, v9, v7, vcc
	v_lshlrev_b64 v[4:5], 3, v[4:5]
	v_add_co_u32_e32 v4, vcc, s6, v4
	v_addc_co_u32_e32 v5, vcc, v10, v5, vcc
	v_add_co_u32_e32 v16, vcc, s38, v6
	v_addc_co_u32_e32 v17, vcc, v7, v11, vcc
	;; [unrolled: 2-line block ×3, first 2 shown]
	global_load_dwordx2 v[18:19], v[16:17], off
	global_load_dwordx2 v[22:23], v[20:21], off
	;; [unrolled: 1-line block ×3, first 2 shown]
	v_add_co_u32_e32 v6, vcc, s38, v16
	v_addc_co_u32_e32 v7, vcc, v17, v11, vcc
	global_load_dwordx2 v[16:17], v[6:7], off
	global_load_dwordx2 v[26:27], v[4:5], off
	v_add_co_u32_e32 v4, vcc, s33, v20
	v_addc_co_u32_e32 v5, vcc, v21, v13, vcc
	global_load_dwordx2 v[4:5], v[4:5], off
	v_lshlrev_b64 v[6:7], 3, v[0:1]
	v_add_co_u32_e32 v6, vcc, s0, v6
	v_addc_co_u32_e32 v7, vcc, v8, v7, vcc
	v_add_co_u32_e32 v20, vcc, s20, v6
	v_addc_co_u32_e32 v21, vcc, v7, v14, vcc
	s_waitcnt vmcnt(4)
	v_mul_lo_u32 v0, v23, v18
	v_mul_lo_u32 v30, v22, v19
	v_mad_u64_u32 v[28:29], s[42:43], v22, v18, 0
	v_add3_u32 v0, v29, v30, v0
	s_waitcnt vmcnt(3)
	v_mul_lo_u32 v32, v25, v22
	v_mul_lo_u32 v33, v24, v23
	v_mad_u64_u32 v[22:23], s[42:43], v24, v22, 0
	s_waitcnt vmcnt(1)
	v_mul_lo_u32 v34, v27, v18
	v_mul_lo_u32 v35, v26, v19
	s_waitcnt vmcnt(0)
	v_mul_lo_u32 v29, v5, v16
	v_mul_lo_u32 v36, v4, v17
	v_mad_u64_u32 v[30:31], s[42:43], v4, v16, 0
	v_mad_u64_u32 v[18:19], s[42:43], v26, v18, 0
	v_mul_lo_u32 v27, v27, v16
	v_mul_lo_u32 v37, v26, v17
	v_mad_u64_u32 v[16:17], s[42:43], v26, v16, 0
	v_mul_lo_u32 v25, v25, v4
	v_mul_lo_u32 v26, v24, v5
	v_mad_u64_u32 v[4:5], s[42:43], v24, v4, 0
	v_add3_u32 v29, v31, v36, v29
	v_sub_co_u32_e32 v24, vcc, v28, v30
	v_add3_u32 v5, v5, v26, v25
	v_subb_co_u32_e32 v25, vcc, v0, v29, vcc
	v_add3_u32 v23, v23, v33, v32
	v_add3_u32 v17, v17, v37, v27
	v_sub_co_u32_e32 v16, vcc, v16, v22
	v_subb_co_u32_e32 v17, vcc, v17, v23, vcc
	v_add3_u32 v19, v19, v35, v34
	v_sub_co_u32_e32 v4, vcc, v4, v18
	v_subb_co_u32_e32 v5, vcc, v5, v19, vcc
	global_store_dwordx2 v[6:7], v[24:25], off
	global_store_dwordx2 v[20:21], v[16:17], off
	v_add_co_u32_e32 v6, vcc, s20, v20
	v_addc_co_u32_e32 v7, vcc, v21, v14, vcc
	v_add_co_u32_e32 v2, vcc, s13, v2
	v_addc_co_u32_e32 v3, vcc, v3, v15, vcc
	v_cmp_le_i64_e32 vcc, s[24:25], v[2:3]
	s_or_b64 s[22:23], vcc, s[22:23]
	global_store_dwordx2 v[6:7], v[4:5], off
	s_andn2_b64 exec, exec, s[22:23]
	s_cbranch_execz .LBB7_13
.LBB7_3:                                ; =>This Loop Header: Depth=1
                                        ;     Child Loop BB7_6 Depth 2
	s_andn2_b64 vcc, exec, s[26:27]
	s_cbranch_vccnz .LBB7_10
; %bb.4:                                ;   in Loop: Header=BB7_3 Depth=1
	s_andn2_b64 vcc, exec, s[28:29]
	v_mov_b32_e32 v4, 0
	v_mov_b32_e32 v6, 0
	;; [unrolled: 1-line block ×3, first 2 shown]
	s_cbranch_vccnz .LBB7_9
; %bb.5:                                ;   in Loop: Header=BB7_3 Depth=1
	v_mov_b32_e32 v0, 0
	s_mov_b32 s1, s18
	s_mov_b64 s[42:43], s[4:5]
	v_mov_b32_e32 v5, v2
	v_mov_b32_e32 v6, v0
	;; [unrolled: 1-line block ×3, first 2 shown]
.LBB7_6:                                ;   Parent Loop BB7_3 Depth=1
                                        ; =>  This Inner Loop Header: Depth=2
	s_mov_b64 s[52:53], s[42:43]
	s_load_dwordx4 s[44:47], s[52:53], 0x18
	s_load_dwordx2 s[54:55], s[52:53], 0x28
	s_load_dwordx2 s[56:57], s[52:53], 0xe8
	s_load_dwordx4 s[48:51], s[52:53], 0xd8
	s_add_u32 s42, s52, 24
	s_waitcnt lgkmcnt(0)
	v_mul_hi_u32 v7, s45, v5
	v_add_u32_e32 v7, v5, v7
	v_lshrrev_b32_e32 v7, s46, v7
	v_mul_lo_u32 v16, v7, s44
	v_mul_hi_u32 v17, s54, v7
	v_sub_u32_e32 v5, v5, v16
	v_add_u32_e32 v16, v7, v17
	v_mul_lo_u32 v17, v5, s48
	v_mul_lo_u32 v18, v5, s49
	;; [unrolled: 1-line block ×3, first 2 shown]
	v_lshrrev_b32_e32 v5, s55, v16
	v_mul_lo_u32 v16, v5, s47
	v_sub_u32_e32 v7, v7, v16
	s_addc_u32 s43, s53, 0
	s_add_i32 s1, s1, -2
	v_mul_lo_u32 v16, v7, s51
	v_mul_lo_u32 v20, v7, s56
	;; [unrolled: 1-line block ×3, first 2 shown]
	s_cmp_lg_u32 s1, 0
	v_add3_u32 v0, v17, v0, v16
	v_add3_u32 v4, v19, v4, v7
	;; [unrolled: 1-line block ×3, first 2 shown]
	s_cbranch_scc1 .LBB7_6
; %bb.7:                                ;   in Loop: Header=BB7_3 Depth=1
	s_andn2_b64 vcc, exec, s[36:37]
	s_cbranch_vccnz .LBB7_9
; %bb.8:                                ;   in Loop: Header=BB7_3 Depth=1
	s_load_dwordx2 s[44:45], s[42:43], 0x18
	s_load_dword s1, s[42:43], 0x20
	s_load_dword s3, s[42:43], 0xe0
	s_load_dwordx2 s[46:47], s[42:43], 0xd8
	s_waitcnt lgkmcnt(0)
	v_mul_hi_u32 v7, s45, v5
	v_add_u32_e32 v7, v5, v7
	v_lshrrev_b32_e32 v7, s1, v7
	v_mul_lo_u32 v7, v7, s44
	v_sub_u32_e32 v5, v5, v7
	v_mad_u64_u32 v[16:17], s[42:43], v5, s46, v[0:1]
	v_mad_u64_u32 v[6:7], s[42:43], v5, s47, v[6:7]
	;; [unrolled: 1-line block ×3, first 2 shown]
	v_mov_b32_e32 v0, v16
.LBB7_9:                                ;   in Loop: Header=BB7_3 Depth=1
	s_cbranch_execnz .LBB7_2
	s_branch .LBB7_11
.LBB7_10:                               ;   in Loop: Header=BB7_3 Depth=1
                                        ; implicit-def: $vgpr4
                                        ; implicit-def: $vgpr6
.LBB7_11:                               ;   in Loop: Header=BB7_3 Depth=1
	v_mul_hi_u32 v0, v2, s10
	v_add_u32_e32 v0, v0, v2
	v_lshrrev_b32_e32 v5, s11, v0
	v_mul_lo_u32 v0, v5, s9
	v_sub_u32_e32 v6, v2, v0
	v_mul_lo_u32 v0, v6, s16
	v_mul_lo_u32 v4, v6, s17
	s_andn2_b64 vcc, exec, s[34:35]
	v_mul_lo_u32 v6, v6, s15
	s_cbranch_vccnz .LBB7_2
; %bb.12:                               ;   in Loop: Header=BB7_3 Depth=1
	v_mul_hi_u32 v7, s8, v5
	v_add_u32_e32 v7, v5, v7
	v_lshrrev_b32_e32 v7, s14, v7
	v_mul_lo_u32 v7, v7, s12
	v_sub_u32_e32 v5, v5, v7
	v_mad_u64_u32 v[16:17], s[42:43], v5, s19, v[0:1]
	v_mad_u64_u32 v[6:7], s[42:43], v5, s30, v[6:7]
	;; [unrolled: 1-line block ×3, first 2 shown]
	v_mov_b32_e32 v0, v16
	s_branch .LBB7_2
.LBB7_13:
	s_endpgm
	.section	.rodata,"a",@progbits
	.p2align	6, 0x0
	.amdhsa_kernel _ZN2at6native12cross_kernelIl16OffsetCalculatorILi3EjLb0EEiEEviPT_PKS4_S7_T0_T1_S9_S9_
		.amdhsa_group_segment_fixed_size 0
		.amdhsa_private_segment_fixed_size 0
		.amdhsa_kernarg_size 688
		.amdhsa_user_sgpr_count 6
		.amdhsa_user_sgpr_private_segment_buffer 1
		.amdhsa_user_sgpr_dispatch_ptr 0
		.amdhsa_user_sgpr_queue_ptr 0
		.amdhsa_user_sgpr_kernarg_segment_ptr 1
		.amdhsa_user_sgpr_dispatch_id 0
		.amdhsa_user_sgpr_flat_scratch_init 0
		.amdhsa_user_sgpr_kernarg_preload_length 0
		.amdhsa_user_sgpr_kernarg_preload_offset 0
		.amdhsa_user_sgpr_private_segment_size 0
		.amdhsa_uses_dynamic_stack 0
		.amdhsa_system_sgpr_private_segment_wavefront_offset 0
		.amdhsa_system_sgpr_workgroup_id_x 1
		.amdhsa_system_sgpr_workgroup_id_y 0
		.amdhsa_system_sgpr_workgroup_id_z 0
		.amdhsa_system_sgpr_workgroup_info 0
		.amdhsa_system_vgpr_workitem_id 0
		.amdhsa_next_free_vgpr 38
		.amdhsa_next_free_sgpr 58
		.amdhsa_accum_offset 40
		.amdhsa_reserve_vcc 1
		.amdhsa_reserve_flat_scratch 0
		.amdhsa_float_round_mode_32 0
		.amdhsa_float_round_mode_16_64 0
		.amdhsa_float_denorm_mode_32 3
		.amdhsa_float_denorm_mode_16_64 3
		.amdhsa_dx10_clamp 1
		.amdhsa_ieee_mode 1
		.amdhsa_fp16_overflow 0
		.amdhsa_tg_split 0
		.amdhsa_exception_fp_ieee_invalid_op 0
		.amdhsa_exception_fp_denorm_src 0
		.amdhsa_exception_fp_ieee_div_zero 0
		.amdhsa_exception_fp_ieee_overflow 0
		.amdhsa_exception_fp_ieee_underflow 0
		.amdhsa_exception_fp_ieee_inexact 0
		.amdhsa_exception_int_div_zero 0
	.end_amdhsa_kernel
	.section	.text._ZN2at6native12cross_kernelIl16OffsetCalculatorILi3EjLb0EEiEEviPT_PKS4_S7_T0_T1_S9_S9_,"axG",@progbits,_ZN2at6native12cross_kernelIl16OffsetCalculatorILi3EjLb0EEiEEviPT_PKS4_S7_T0_T1_S9_S9_,comdat
.Lfunc_end7:
	.size	_ZN2at6native12cross_kernelIl16OffsetCalculatorILi3EjLb0EEiEEviPT_PKS4_S7_T0_T1_S9_S9_, .Lfunc_end7-_ZN2at6native12cross_kernelIl16OffsetCalculatorILi3EjLb0EEiEEviPT_PKS4_S7_T0_T1_S9_S9_
                                        ; -- End function
	.section	.AMDGPU.csdata,"",@progbits
; Kernel info:
; codeLenInByte = 1204
; NumSgprs: 62
; NumVgprs: 38
; NumAgprs: 0
; TotalNumVgprs: 38
; ScratchSize: 0
; MemoryBound: 0
; FloatMode: 240
; IeeeMode: 1
; LDSByteSize: 0 bytes/workgroup (compile time only)
; SGPRBlocks: 7
; VGPRBlocks: 4
; NumSGPRsForWavesPerEU: 62
; NumVGPRsForWavesPerEU: 38
; AccumOffset: 40
; Occupancy: 8
; WaveLimiterHint : 1
; COMPUTE_PGM_RSRC2:SCRATCH_EN: 0
; COMPUTE_PGM_RSRC2:USER_SGPR: 6
; COMPUTE_PGM_RSRC2:TRAP_HANDLER: 0
; COMPUTE_PGM_RSRC2:TGID_X_EN: 1
; COMPUTE_PGM_RSRC2:TGID_Y_EN: 0
; COMPUTE_PGM_RSRC2:TGID_Z_EN: 0
; COMPUTE_PGM_RSRC2:TIDIG_COMP_CNT: 0
; COMPUTE_PGM_RSRC3_GFX90A:ACCUM_OFFSET: 9
; COMPUTE_PGM_RSRC3_GFX90A:TG_SPLIT: 0
	.section	.text._ZN2at6native12cross_kernelIs16OffsetCalculatorILi3EjLb0EElEEviPT_PKS4_S7_T0_T1_S9_S9_,"axG",@progbits,_ZN2at6native12cross_kernelIs16OffsetCalculatorILi3EjLb0EElEEviPT_PKS4_S7_T0_T1_S9_S9_,comdat
	.protected	_ZN2at6native12cross_kernelIs16OffsetCalculatorILi3EjLb0EElEEviPT_PKS4_S7_T0_T1_S9_S9_ ; -- Begin function _ZN2at6native12cross_kernelIs16OffsetCalculatorILi3EjLb0EElEEviPT_PKS4_S7_T0_T1_S9_S9_
	.globl	_ZN2at6native12cross_kernelIs16OffsetCalculatorILi3EjLb0EElEEviPT_PKS4_S7_T0_T1_S9_S9_
	.p2align	8
	.type	_ZN2at6native12cross_kernelIs16OffsetCalculatorILi3EjLb0EElEEviPT_PKS4_S7_T0_T1_S9_S9_,@function
_ZN2at6native12cross_kernelIs16OffsetCalculatorILi3EjLb0EElEEviPT_PKS4_S7_T0_T1_S9_S9_: ; @_ZN2at6native12cross_kernelIs16OffsetCalculatorILi3EjLb0EElEEviPT_PKS4_S7_T0_T1_S9_S9_
; %bb.0:
	s_load_dword s24, s[4:5], 0x0
	s_load_dword s0, s[4:5], 0x1cc
	v_mov_b32_e32 v1, 0
	v_mov_b32_e32 v2, s6
	s_waitcnt lgkmcnt(0)
	s_ashr_i32 s25, s24, 31
	s_add_u32 s20, s4, 0x1c0
	s_addc_u32 s21, s5, 0
	s_and_b32 s33, s0, 0xffff
	v_mad_u64_u32 v[2:3], s[0:1], s33, v2, v[0:1]
	v_cmp_gt_i64_e32 vcc, s[24:25], v[2:3]
	s_and_saveexec_b64 s[0:1], vcc
	s_cbranch_execz .LBB8_13
; %bb.1:
	s_load_dwordx8 s[8:15], s[4:5], 0x20
	s_load_dwordx4 s[16:19], s[4:5], 0x8
	s_load_dwordx2 s[6:7], s[4:5], 0x18
	s_load_dwordx2 s[40:41], s[4:5], 0x1b8
	s_load_dwordx4 s[0:3], s[4:5], 0x1a8
	s_load_dword s38, s[20:21], 0x0
	s_waitcnt lgkmcnt(0)
	s_add_i32 s15, s8, -1
	s_load_dwordx4 s[20:23], s[4:5], 0xe4
	s_load_dwordx2 s[30:31], s[4:5], 0xf4
	s_cmp_gt_u32 s15, 1
	s_cselect_b64 s[26:27], -1, 0
	s_cmp_lg_u32 s8, 0
	s_cselect_b64 s[28:29], -1, 0
	s_min_u32 s39, s15, 15
	s_cmp_gt_u32 s8, 1
	s_waitcnt lgkmcnt(0)
	s_mov_b32 s15, s21
	s_mov_b32 s21, s22
	s_cselect_b64 s[34:35], -1, 0
	s_add_i32 s22, s39, 1
	s_lshl_b64 s[36:37], s[40:41], 2
	s_and_b32 s22, s22, 30
	s_bitcmp0_b32 s39, 0
	s_mov_b32 s8, s13
	s_mul_i32 s13, s38, s33
	s_cselect_b64 s[38:39], -1, 0
	s_lshl_b64 s[2:3], s[2:3], 1
	s_lshl_b64 s[42:43], s[40:41], 1
	s_sub_u32 s33, 0, s42
	s_subb_u32 s45, 0, s43
	s_lshl_b64 s[42:43], s[0:1], 1
	s_mov_b32 s44, 0
	s_add_u32 s4, s4, 12
	s_mov_b64 s[40:41], 0
	s_addc_u32 s5, s5, 0
	v_mov_b32_e32 v8, s17
	v_mov_b32_e32 v9, s19
	;; [unrolled: 1-line block ×8, first 2 shown]
	s_branch .LBB8_3
.LBB8_2:                                ;   in Loop: Header=BB8_3 Depth=1
	v_mov_b32_e32 v7, v1
	v_lshlrev_b64 v[6:7], 1, v[6:7]
	v_add_co_u32_e32 v6, vcc, s18, v6
	v_mov_b32_e32 v5, v1
	v_addc_co_u32_e32 v7, vcc, v9, v7, vcc
	v_lshlrev_b64 v[4:5], 1, v[4:5]
	v_add_co_u32_e32 v4, vcc, s6, v4
	v_addc_co_u32_e32 v5, vcc, v10, v5, vcc
	v_add_co_u32_e32 v16, vcc, s2, v6
	v_addc_co_u32_e32 v17, vcc, v7, v11, vcc
	;; [unrolled: 2-line block ×3, first 2 shown]
	global_load_ushort v20, v[16:17], off
	v_add_co_u32_e32 v16, vcc, s2, v16
	v_addc_co_u32_e32 v17, vcc, v17, v11, vcc
	global_load_ushort v22, v[16:17], off
	v_add_co_u32_e32 v16, vcc, s33, v18
	global_load_ushort v21, v[18:19], off
	v_addc_co_u32_e32 v17, vcc, v19, v13, vcc
	global_load_ushort v18, v[6:7], off
	global_load_ushort v19, v[4:5], off
	;; [unrolled: 1-line block ×3, first 2 shown]
	v_add_co_u32_e32 v2, vcc, s13, v2
	v_lshlrev_b64 v[4:5], 1, v[0:1]
	v_addc_co_u32_e32 v3, vcc, v3, v15, vcc
	v_add_co_u32_e32 v4, vcc, s16, v4
	v_addc_co_u32_e32 v5, vcc, v8, v5, vcc
	v_cmp_le_i64_e32 vcc, s[24:25], v[2:3]
	v_add_co_u32_e64 v6, s[0:1], s42, v4
	v_addc_co_u32_e64 v7, s[0:1], v5, v14, s[0:1]
	s_or_b64 s[40:41], vcc, s[40:41]
	v_add_co_u32_e32 v16, vcc, s42, v6
	v_addc_co_u32_e32 v17, vcc, v7, v14, vcc
	s_waitcnt vmcnt(3)
	v_mul_lo_u16_e32 v0, v21, v20
	s_waitcnt vmcnt(2)
	v_mul_lo_u16_e32 v21, v18, v21
	;; [unrolled: 2-line block ×4, first 2 shown]
	v_mul_lo_u16_e32 v19, v19, v22
	v_mul_lo_u16_e32 v18, v18, v23
	v_sub_u16_e32 v0, v0, v24
	v_sub_u16_e32 v19, v19, v21
	;; [unrolled: 1-line block ×3, first 2 shown]
	global_store_short v[4:5], v0, off
	global_store_short v[6:7], v19, off
	;; [unrolled: 1-line block ×3, first 2 shown]
	s_andn2_b64 exec, exec, s[40:41]
	s_cbranch_execz .LBB8_13
.LBB8_3:                                ; =>This Loop Header: Depth=1
                                        ;     Child Loop BB8_6 Depth 2
	s_andn2_b64 vcc, exec, s[26:27]
	s_cbranch_vccnz .LBB8_10
; %bb.4:                                ;   in Loop: Header=BB8_3 Depth=1
	s_andn2_b64 vcc, exec, s[28:29]
	v_mov_b32_e32 v4, 0
	v_mov_b32_e32 v6, 0
	;; [unrolled: 1-line block ×3, first 2 shown]
	s_cbranch_vccnz .LBB8_9
; %bb.5:                                ;   in Loop: Header=BB8_3 Depth=1
	v_mov_b32_e32 v0, 0
	s_mov_b32 s3, s22
	s_mov_b64 s[0:1], s[4:5]
	v_mov_b32_e32 v5, v2
	v_mov_b32_e32 v6, v0
	;; [unrolled: 1-line block ×3, first 2 shown]
.LBB8_6:                                ;   Parent Loop BB8_3 Depth=1
                                        ; =>  This Inner Loop Header: Depth=2
	s_mov_b64 s[52:53], s[0:1]
	s_load_dwordx4 s[44:47], s[52:53], 0x18
	s_load_dwordx2 s[54:55], s[52:53], 0x28
	s_load_dwordx2 s[56:57], s[52:53], 0xe8
	s_load_dwordx4 s[48:51], s[52:53], 0xd8
	s_add_u32 s0, s52, 24
	s_waitcnt lgkmcnt(0)
	v_mul_hi_u32 v7, s45, v5
	v_add_u32_e32 v7, v5, v7
	v_lshrrev_b32_e32 v7, s46, v7
	v_mul_lo_u32 v16, v7, s44
	v_mul_hi_u32 v17, s54, v7
	v_sub_u32_e32 v5, v5, v16
	v_add_u32_e32 v16, v7, v17
	v_mul_lo_u32 v17, v5, s48
	v_mul_lo_u32 v18, v5, s49
	;; [unrolled: 1-line block ×3, first 2 shown]
	v_lshrrev_b32_e32 v5, s55, v16
	v_mul_lo_u32 v16, v5, s47
	v_sub_u32_e32 v7, v7, v16
	s_addc_u32 s1, s53, 0
	s_add_i32 s3, s3, -2
	v_mul_lo_u32 v16, v7, s51
	v_mul_lo_u32 v20, v7, s56
	;; [unrolled: 1-line block ×3, first 2 shown]
	s_cmp_lg_u32 s3, 0
	v_add3_u32 v0, v17, v0, v16
	v_add3_u32 v4, v19, v4, v7
	;; [unrolled: 1-line block ×3, first 2 shown]
	s_cbranch_scc1 .LBB8_6
; %bb.7:                                ;   in Loop: Header=BB8_3 Depth=1
	s_andn2_b64 vcc, exec, s[38:39]
	s_cbranch_vccnz .LBB8_9
; %bb.8:                                ;   in Loop: Header=BB8_3 Depth=1
	s_load_dwordx2 s[44:45], s[0:1], 0x18
	s_load_dword s3, s[0:1], 0x20
	s_load_dword s7, s[0:1], 0xe0
	s_load_dwordx2 s[46:47], s[0:1], 0xd8
	s_waitcnt lgkmcnt(0)
	v_mul_hi_u32 v7, s45, v5
	v_add_u32_e32 v7, v5, v7
	v_lshrrev_b32_e32 v7, s3, v7
	v_mul_lo_u32 v7, v7, s44
	v_sub_u32_e32 v5, v5, v7
	v_mad_u64_u32 v[16:17], s[0:1], v5, s46, v[0:1]
	v_mad_u64_u32 v[6:7], s[0:1], v5, s47, v[6:7]
	;; [unrolled: 1-line block ×3, first 2 shown]
	v_mov_b32_e32 v0, v16
.LBB8_9:                                ;   in Loop: Header=BB8_3 Depth=1
	s_cbranch_execnz .LBB8_2
	s_branch .LBB8_11
.LBB8_10:                               ;   in Loop: Header=BB8_3 Depth=1
                                        ; implicit-def: $vgpr4
                                        ; implicit-def: $vgpr6
.LBB8_11:                               ;   in Loop: Header=BB8_3 Depth=1
	v_mul_hi_u32 v0, v2, s10
	v_add_u32_e32 v0, v0, v2
	v_lshrrev_b32_e32 v5, s11, v0
	v_mul_lo_u32 v0, v5, s9
	v_sub_u32_e32 v6, v2, v0
	v_mul_lo_u32 v0, v6, s20
	v_mul_lo_u32 v4, v6, s21
	s_andn2_b64 vcc, exec, s[34:35]
	v_mul_lo_u32 v6, v6, s15
	s_cbranch_vccnz .LBB8_2
; %bb.12:                               ;   in Loop: Header=BB8_3 Depth=1
	v_mul_hi_u32 v7, s8, v5
	v_add_u32_e32 v7, v5, v7
	v_lshrrev_b32_e32 v7, s14, v7
	v_mul_lo_u32 v7, v7, s12
	v_sub_u32_e32 v5, v5, v7
	v_mad_u64_u32 v[16:17], s[0:1], v5, s23, v[0:1]
	v_mad_u64_u32 v[6:7], s[0:1], v5, s30, v[6:7]
	;; [unrolled: 1-line block ×3, first 2 shown]
	v_mov_b32_e32 v0, v16
	s_branch .LBB8_2
.LBB8_13:
	s_endpgm
	.section	.rodata,"a",@progbits
	.p2align	6, 0x0
	.amdhsa_kernel _ZN2at6native12cross_kernelIs16OffsetCalculatorILi3EjLb0EElEEviPT_PKS4_S7_T0_T1_S9_S9_
		.amdhsa_group_segment_fixed_size 0
		.amdhsa_private_segment_fixed_size 0
		.amdhsa_kernarg_size 704
		.amdhsa_user_sgpr_count 6
		.amdhsa_user_sgpr_private_segment_buffer 1
		.amdhsa_user_sgpr_dispatch_ptr 0
		.amdhsa_user_sgpr_queue_ptr 0
		.amdhsa_user_sgpr_kernarg_segment_ptr 1
		.amdhsa_user_sgpr_dispatch_id 0
		.amdhsa_user_sgpr_flat_scratch_init 0
		.amdhsa_user_sgpr_kernarg_preload_length 0
		.amdhsa_user_sgpr_kernarg_preload_offset 0
		.amdhsa_user_sgpr_private_segment_size 0
		.amdhsa_uses_dynamic_stack 0
		.amdhsa_system_sgpr_private_segment_wavefront_offset 0
		.amdhsa_system_sgpr_workgroup_id_x 1
		.amdhsa_system_sgpr_workgroup_id_y 0
		.amdhsa_system_sgpr_workgroup_id_z 0
		.amdhsa_system_sgpr_workgroup_info 0
		.amdhsa_system_vgpr_workitem_id 0
		.amdhsa_next_free_vgpr 25
		.amdhsa_next_free_sgpr 58
		.amdhsa_accum_offset 28
		.amdhsa_reserve_vcc 1
		.amdhsa_reserve_flat_scratch 0
		.amdhsa_float_round_mode_32 0
		.amdhsa_float_round_mode_16_64 0
		.amdhsa_float_denorm_mode_32 3
		.amdhsa_float_denorm_mode_16_64 3
		.amdhsa_dx10_clamp 1
		.amdhsa_ieee_mode 1
		.amdhsa_fp16_overflow 0
		.amdhsa_tg_split 0
		.amdhsa_exception_fp_ieee_invalid_op 0
		.amdhsa_exception_fp_denorm_src 0
		.amdhsa_exception_fp_ieee_div_zero 0
		.amdhsa_exception_fp_ieee_overflow 0
		.amdhsa_exception_fp_ieee_underflow 0
		.amdhsa_exception_fp_ieee_inexact 0
		.amdhsa_exception_int_div_zero 0
	.end_amdhsa_kernel
	.section	.text._ZN2at6native12cross_kernelIs16OffsetCalculatorILi3EjLb0EElEEviPT_PKS4_S7_T0_T1_S9_S9_,"axG",@progbits,_ZN2at6native12cross_kernelIs16OffsetCalculatorILi3EjLb0EElEEviPT_PKS4_S7_T0_T1_S9_S9_,comdat
.Lfunc_end8:
	.size	_ZN2at6native12cross_kernelIs16OffsetCalculatorILi3EjLb0EElEEviPT_PKS4_S7_T0_T1_S9_S9_, .Lfunc_end8-_ZN2at6native12cross_kernelIs16OffsetCalculatorILi3EjLb0EElEEviPT_PKS4_S7_T0_T1_S9_S9_
                                        ; -- End function
	.section	.AMDGPU.csdata,"",@progbits
; Kernel info:
; codeLenInByte = 1016
; NumSgprs: 62
; NumVgprs: 25
; NumAgprs: 0
; TotalNumVgprs: 25
; ScratchSize: 0
; MemoryBound: 0
; FloatMode: 240
; IeeeMode: 1
; LDSByteSize: 0 bytes/workgroup (compile time only)
; SGPRBlocks: 7
; VGPRBlocks: 3
; NumSGPRsForWavesPerEU: 62
; NumVGPRsForWavesPerEU: 25
; AccumOffset: 28
; Occupancy: 8
; WaveLimiterHint : 1
; COMPUTE_PGM_RSRC2:SCRATCH_EN: 0
; COMPUTE_PGM_RSRC2:USER_SGPR: 6
; COMPUTE_PGM_RSRC2:TRAP_HANDLER: 0
; COMPUTE_PGM_RSRC2:TGID_X_EN: 1
; COMPUTE_PGM_RSRC2:TGID_Y_EN: 0
; COMPUTE_PGM_RSRC2:TGID_Z_EN: 0
; COMPUTE_PGM_RSRC2:TIDIG_COMP_CNT: 0
; COMPUTE_PGM_RSRC3_GFX90A:ACCUM_OFFSET: 6
; COMPUTE_PGM_RSRC3_GFX90A:TG_SPLIT: 0
	.section	.text._ZN2at6native12cross_kernelIs16OffsetCalculatorILi3EjLb0EEiEEviPT_PKS4_S7_T0_T1_S9_S9_,"axG",@progbits,_ZN2at6native12cross_kernelIs16OffsetCalculatorILi3EjLb0EEiEEviPT_PKS4_S7_T0_T1_S9_S9_,comdat
	.protected	_ZN2at6native12cross_kernelIs16OffsetCalculatorILi3EjLb0EEiEEviPT_PKS4_S7_T0_T1_S9_S9_ ; -- Begin function _ZN2at6native12cross_kernelIs16OffsetCalculatorILi3EjLb0EEiEEviPT_PKS4_S7_T0_T1_S9_S9_
	.globl	_ZN2at6native12cross_kernelIs16OffsetCalculatorILi3EjLb0EEiEEviPT_PKS4_S7_T0_T1_S9_S9_
	.p2align	8
	.type	_ZN2at6native12cross_kernelIs16OffsetCalculatorILi3EjLb0EEiEEviPT_PKS4_S7_T0_T1_S9_S9_,@function
_ZN2at6native12cross_kernelIs16OffsetCalculatorILi3EjLb0EEiEEviPT_PKS4_S7_T0_T1_S9_S9_: ; @_ZN2at6native12cross_kernelIs16OffsetCalculatorILi3EjLb0EEiEEviPT_PKS4_S7_T0_T1_S9_S9_
; %bb.0:
	s_load_dword s24, s[4:5], 0x0
	s_load_dword s0, s[4:5], 0x1bc
	v_mov_b32_e32 v1, 0
	v_mov_b32_e32 v2, s6
	s_waitcnt lgkmcnt(0)
	s_ashr_i32 s25, s24, 31
	s_add_u32 s20, s4, 0x1b0
	s_addc_u32 s21, s5, 0
	s_and_b32 s33, s0, 0xffff
	v_mad_u64_u32 v[2:3], s[0:1], s33, v2, v[0:1]
	v_cmp_gt_i64_e32 vcc, s[24:25], v[2:3]
	s_and_saveexec_b64 s[0:1], vcc
	s_cbranch_execz .LBB9_13
; %bb.1:
	s_load_dwordx8 s[8:15], s[4:5], 0x20
	s_load_dwordx4 s[16:19], s[4:5], 0x8
	s_load_dwordx2 s[6:7], s[4:5], 0x18
	s_load_dwordx4 s[0:3], s[4:5], 0x1a4
	s_waitcnt lgkmcnt(0)
	s_load_dword s3, s[20:21], 0x0
	s_add_i32 s15, s8, -1
                                        ; kill: killed $sgpr20 killed $sgpr21
	s_cmp_gt_u32 s15, 1
	s_load_dwordx4 s[20:23], s[4:5], 0xe4
	s_load_dwordx2 s[30:31], s[4:5], 0xf4
	s_cselect_b64 s[26:27], -1, 0
	s_cmp_lg_u32 s8, 0
	s_cselect_b64 s[28:29], -1, 0
	s_min_u32 s36, s15, 15
	s_cmp_gt_u32 s8, 1
	s_cselect_b64 s[34:35], -1, 0
	s_mov_b32 s8, s13
	s_lshl_b32 s42, s2, 1
	s_waitcnt lgkmcnt(0)
	s_mul_i32 s13, s3, s33
	s_add_i32 s3, s36, 1
	s_mov_b32 s15, s21
	s_mov_b32 s21, s22
	s_ashr_i32 s39, s1, 31
	s_mov_b32 s38, s1
	s_ashr_i32 s43, s42, 31
	s_ashr_i32 s1, s0, 31
	s_and_b32 s22, s3, 30
	s_bitcmp0_b32 s36, 0
	s_cselect_b64 s[36:37], -1, 0
	s_ashr_i32 s3, s2, 31
	s_lshl_b64 s[38:39], s[38:39], 1
	s_lshl_b64 s[40:41], s[2:3], 1
	s_sub_u32 s33, 0, s40
	s_subb_u32 s45, 0, s41
	s_lshl_b64 s[40:41], s[0:1], 1
	s_add_u32 s4, s4, 12
	s_mov_b32 s44, 0
	s_addc_u32 s5, s5, 0
	s_lshl_b64 s[42:43], s[42:43], 1
	s_mov_b64 s[2:3], 0
	v_mov_b32_e32 v8, s17
	v_mov_b32_e32 v9, s19
	;; [unrolled: 1-line block ×8, first 2 shown]
	s_branch .LBB9_3
.LBB9_2:                                ;   in Loop: Header=BB9_3 Depth=1
	v_mov_b32_e32 v7, v1
	v_lshlrev_b64 v[6:7], 1, v[6:7]
	v_add_co_u32_e32 v6, vcc, s18, v6
	v_mov_b32_e32 v5, v1
	v_addc_co_u32_e32 v7, vcc, v9, v7, vcc
	v_lshlrev_b64 v[4:5], 1, v[4:5]
	v_add_co_u32_e32 v4, vcc, s6, v4
	v_addc_co_u32_e32 v5, vcc, v10, v5, vcc
	v_add_co_u32_e32 v16, vcc, s38, v6
	v_addc_co_u32_e32 v17, vcc, v7, v11, vcc
	;; [unrolled: 2-line block ×3, first 2 shown]
	global_load_ushort v20, v[16:17], off
	v_add_co_u32_e32 v16, vcc, s38, v16
	v_addc_co_u32_e32 v17, vcc, v17, v11, vcc
	global_load_ushort v22, v[16:17], off
	v_add_co_u32_e32 v16, vcc, s33, v18
	global_load_ushort v21, v[18:19], off
	v_addc_co_u32_e32 v17, vcc, v19, v13, vcc
	global_load_ushort v18, v[6:7], off
	global_load_ushort v19, v[4:5], off
	;; [unrolled: 1-line block ×3, first 2 shown]
	v_add_co_u32_e32 v2, vcc, s13, v2
	v_lshlrev_b64 v[4:5], 1, v[0:1]
	v_addc_co_u32_e32 v3, vcc, v3, v15, vcc
	v_add_co_u32_e32 v4, vcc, s16, v4
	v_addc_co_u32_e32 v5, vcc, v8, v5, vcc
	v_cmp_le_i64_e32 vcc, s[24:25], v[2:3]
	v_add_co_u32_e64 v6, s[0:1], s40, v4
	v_addc_co_u32_e64 v7, s[0:1], v5, v14, s[0:1]
	s_or_b64 s[2:3], vcc, s[2:3]
	v_add_co_u32_e32 v16, vcc, s40, v6
	v_addc_co_u32_e32 v17, vcc, v7, v14, vcc
	s_waitcnt vmcnt(3)
	v_mul_lo_u16_e32 v0, v21, v20
	s_waitcnt vmcnt(2)
	v_mul_lo_u16_e32 v21, v18, v21
	;; [unrolled: 2-line block ×4, first 2 shown]
	v_mul_lo_u16_e32 v19, v19, v22
	v_mul_lo_u16_e32 v18, v18, v23
	v_sub_u16_e32 v0, v0, v24
	v_sub_u16_e32 v19, v19, v21
	;; [unrolled: 1-line block ×3, first 2 shown]
	global_store_short v[4:5], v0, off
	global_store_short v[6:7], v19, off
	global_store_short v[16:17], v18, off
	s_andn2_b64 exec, exec, s[2:3]
	s_cbranch_execz .LBB9_13
.LBB9_3:                                ; =>This Loop Header: Depth=1
                                        ;     Child Loop BB9_6 Depth 2
	s_andn2_b64 vcc, exec, s[26:27]
	s_cbranch_vccnz .LBB9_10
; %bb.4:                                ;   in Loop: Header=BB9_3 Depth=1
	s_andn2_b64 vcc, exec, s[28:29]
	v_mov_b32_e32 v4, 0
	v_mov_b32_e32 v6, 0
	;; [unrolled: 1-line block ×3, first 2 shown]
	s_cbranch_vccnz .LBB9_9
; %bb.5:                                ;   in Loop: Header=BB9_3 Depth=1
	v_mov_b32_e32 v0, 0
	s_mov_b32 s7, s22
	s_mov_b64 s[0:1], s[4:5]
	v_mov_b32_e32 v5, v2
	v_mov_b32_e32 v6, v0
	;; [unrolled: 1-line block ×3, first 2 shown]
.LBB9_6:                                ;   Parent Loop BB9_3 Depth=1
                                        ; =>  This Inner Loop Header: Depth=2
	s_mov_b64 s[52:53], s[0:1]
	s_load_dwordx4 s[44:47], s[52:53], 0x18
	s_load_dwordx2 s[54:55], s[52:53], 0x28
	s_load_dwordx2 s[56:57], s[52:53], 0xe8
	s_load_dwordx4 s[48:51], s[52:53], 0xd8
	s_add_u32 s0, s52, 24
	s_waitcnt lgkmcnt(0)
	v_mul_hi_u32 v7, s45, v5
	v_add_u32_e32 v7, v5, v7
	v_lshrrev_b32_e32 v7, s46, v7
	v_mul_lo_u32 v16, v7, s44
	v_mul_hi_u32 v17, s54, v7
	v_sub_u32_e32 v5, v5, v16
	v_add_u32_e32 v16, v7, v17
	v_mul_lo_u32 v17, v5, s48
	v_mul_lo_u32 v18, v5, s49
	;; [unrolled: 1-line block ×3, first 2 shown]
	v_lshrrev_b32_e32 v5, s55, v16
	v_mul_lo_u32 v16, v5, s47
	v_sub_u32_e32 v7, v7, v16
	s_addc_u32 s1, s53, 0
	s_add_i32 s7, s7, -2
	v_mul_lo_u32 v16, v7, s51
	v_mul_lo_u32 v20, v7, s56
	;; [unrolled: 1-line block ×3, first 2 shown]
	s_cmp_lg_u32 s7, 0
	v_add3_u32 v0, v17, v0, v16
	v_add3_u32 v4, v19, v4, v7
	;; [unrolled: 1-line block ×3, first 2 shown]
	s_cbranch_scc1 .LBB9_6
; %bb.7:                                ;   in Loop: Header=BB9_3 Depth=1
	s_andn2_b64 vcc, exec, s[36:37]
	s_cbranch_vccnz .LBB9_9
; %bb.8:                                ;   in Loop: Header=BB9_3 Depth=1
	s_load_dwordx2 s[44:45], s[0:1], 0x18
	s_load_dword s7, s[0:1], 0x20
	s_load_dword s17, s[0:1], 0xe0
	s_load_dwordx2 s[46:47], s[0:1], 0xd8
	s_waitcnt lgkmcnt(0)
	v_mul_hi_u32 v7, s45, v5
	v_add_u32_e32 v7, v5, v7
	v_lshrrev_b32_e32 v7, s7, v7
	v_mul_lo_u32 v7, v7, s44
	v_sub_u32_e32 v5, v5, v7
	v_mad_u64_u32 v[16:17], s[0:1], v5, s46, v[0:1]
	v_mad_u64_u32 v[6:7], s[0:1], v5, s47, v[6:7]
	;; [unrolled: 1-line block ×3, first 2 shown]
	v_mov_b32_e32 v0, v16
.LBB9_9:                                ;   in Loop: Header=BB9_3 Depth=1
	s_cbranch_execnz .LBB9_2
	s_branch .LBB9_11
.LBB9_10:                               ;   in Loop: Header=BB9_3 Depth=1
                                        ; implicit-def: $vgpr4
                                        ; implicit-def: $vgpr6
.LBB9_11:                               ;   in Loop: Header=BB9_3 Depth=1
	v_mul_hi_u32 v0, v2, s10
	v_add_u32_e32 v0, v0, v2
	v_lshrrev_b32_e32 v5, s11, v0
	v_mul_lo_u32 v0, v5, s9
	v_sub_u32_e32 v6, v2, v0
	v_mul_lo_u32 v0, v6, s20
	v_mul_lo_u32 v4, v6, s21
	s_andn2_b64 vcc, exec, s[34:35]
	v_mul_lo_u32 v6, v6, s15
	s_cbranch_vccnz .LBB9_2
; %bb.12:                               ;   in Loop: Header=BB9_3 Depth=1
	v_mul_hi_u32 v7, s8, v5
	v_add_u32_e32 v7, v5, v7
	v_lshrrev_b32_e32 v7, s14, v7
	v_mul_lo_u32 v7, v7, s12
	v_sub_u32_e32 v5, v5, v7
	v_mad_u64_u32 v[16:17], s[0:1], v5, s23, v[0:1]
	v_mad_u64_u32 v[6:7], s[0:1], v5, s30, v[6:7]
	;; [unrolled: 1-line block ×3, first 2 shown]
	v_mov_b32_e32 v0, v16
	s_branch .LBB9_2
.LBB9_13:
	s_endpgm
	.section	.rodata,"a",@progbits
	.p2align	6, 0x0
	.amdhsa_kernel _ZN2at6native12cross_kernelIs16OffsetCalculatorILi3EjLb0EEiEEviPT_PKS4_S7_T0_T1_S9_S9_
		.amdhsa_group_segment_fixed_size 0
		.amdhsa_private_segment_fixed_size 0
		.amdhsa_kernarg_size 688
		.amdhsa_user_sgpr_count 6
		.amdhsa_user_sgpr_private_segment_buffer 1
		.amdhsa_user_sgpr_dispatch_ptr 0
		.amdhsa_user_sgpr_queue_ptr 0
		.amdhsa_user_sgpr_kernarg_segment_ptr 1
		.amdhsa_user_sgpr_dispatch_id 0
		.amdhsa_user_sgpr_flat_scratch_init 0
		.amdhsa_user_sgpr_kernarg_preload_length 0
		.amdhsa_user_sgpr_kernarg_preload_offset 0
		.amdhsa_user_sgpr_private_segment_size 0
		.amdhsa_uses_dynamic_stack 0
		.amdhsa_system_sgpr_private_segment_wavefront_offset 0
		.amdhsa_system_sgpr_workgroup_id_x 1
		.amdhsa_system_sgpr_workgroup_id_y 0
		.amdhsa_system_sgpr_workgroup_id_z 0
		.amdhsa_system_sgpr_workgroup_info 0
		.amdhsa_system_vgpr_workitem_id 0
		.amdhsa_next_free_vgpr 25
		.amdhsa_next_free_sgpr 58
		.amdhsa_accum_offset 28
		.amdhsa_reserve_vcc 1
		.amdhsa_reserve_flat_scratch 0
		.amdhsa_float_round_mode_32 0
		.amdhsa_float_round_mode_16_64 0
		.amdhsa_float_denorm_mode_32 3
		.amdhsa_float_denorm_mode_16_64 3
		.amdhsa_dx10_clamp 1
		.amdhsa_ieee_mode 1
		.amdhsa_fp16_overflow 0
		.amdhsa_tg_split 0
		.amdhsa_exception_fp_ieee_invalid_op 0
		.amdhsa_exception_fp_denorm_src 0
		.amdhsa_exception_fp_ieee_div_zero 0
		.amdhsa_exception_fp_ieee_overflow 0
		.amdhsa_exception_fp_ieee_underflow 0
		.amdhsa_exception_fp_ieee_inexact 0
		.amdhsa_exception_int_div_zero 0
	.end_amdhsa_kernel
	.section	.text._ZN2at6native12cross_kernelIs16OffsetCalculatorILi3EjLb0EEiEEviPT_PKS4_S7_T0_T1_S9_S9_,"axG",@progbits,_ZN2at6native12cross_kernelIs16OffsetCalculatorILi3EjLb0EEiEEviPT_PKS4_S7_T0_T1_S9_S9_,comdat
.Lfunc_end9:
	.size	_ZN2at6native12cross_kernelIs16OffsetCalculatorILi3EjLb0EEiEEviPT_PKS4_S7_T0_T1_S9_S9_, .Lfunc_end9-_ZN2at6native12cross_kernelIs16OffsetCalculatorILi3EjLb0EEiEEviPT_PKS4_S7_T0_T1_S9_S9_
                                        ; -- End function
	.section	.AMDGPU.csdata,"",@progbits
; Kernel info:
; codeLenInByte = 1032
; NumSgprs: 62
; NumVgprs: 25
; NumAgprs: 0
; TotalNumVgprs: 25
; ScratchSize: 0
; MemoryBound: 0
; FloatMode: 240
; IeeeMode: 1
; LDSByteSize: 0 bytes/workgroup (compile time only)
; SGPRBlocks: 7
; VGPRBlocks: 3
; NumSGPRsForWavesPerEU: 62
; NumVGPRsForWavesPerEU: 25
; AccumOffset: 28
; Occupancy: 8
; WaveLimiterHint : 1
; COMPUTE_PGM_RSRC2:SCRATCH_EN: 0
; COMPUTE_PGM_RSRC2:USER_SGPR: 6
; COMPUTE_PGM_RSRC2:TRAP_HANDLER: 0
; COMPUTE_PGM_RSRC2:TGID_X_EN: 1
; COMPUTE_PGM_RSRC2:TGID_Y_EN: 0
; COMPUTE_PGM_RSRC2:TGID_Z_EN: 0
; COMPUTE_PGM_RSRC2:TIDIG_COMP_CNT: 0
; COMPUTE_PGM_RSRC3_GFX90A:ACCUM_OFFSET: 6
; COMPUTE_PGM_RSRC3_GFX90A:TG_SPLIT: 0
	.section	.text._ZN2at6native12cross_kernelId16OffsetCalculatorILi3EjLb0EElEEviPT_PKS4_S7_T0_T1_S9_S9_,"axG",@progbits,_ZN2at6native12cross_kernelId16OffsetCalculatorILi3EjLb0EElEEviPT_PKS4_S7_T0_T1_S9_S9_,comdat
	.protected	_ZN2at6native12cross_kernelId16OffsetCalculatorILi3EjLb0EElEEviPT_PKS4_S7_T0_T1_S9_S9_ ; -- Begin function _ZN2at6native12cross_kernelId16OffsetCalculatorILi3EjLb0EElEEviPT_PKS4_S7_T0_T1_S9_S9_
	.globl	_ZN2at6native12cross_kernelId16OffsetCalculatorILi3EjLb0EElEEviPT_PKS4_S7_T0_T1_S9_S9_
	.p2align	8
	.type	_ZN2at6native12cross_kernelId16OffsetCalculatorILi3EjLb0EElEEviPT_PKS4_S7_T0_T1_S9_S9_,@function
_ZN2at6native12cross_kernelId16OffsetCalculatorILi3EjLb0EElEEviPT_PKS4_S7_T0_T1_S9_S9_: ; @_ZN2at6native12cross_kernelId16OffsetCalculatorILi3EjLb0EElEEviPT_PKS4_S7_T0_T1_S9_S9_
; %bb.0:
	s_load_dword s24, s[4:5], 0x0
	s_load_dword s0, s[4:5], 0x1cc
	v_mov_b32_e32 v1, 0
	v_mov_b32_e32 v2, s6
	s_waitcnt lgkmcnt(0)
	s_ashr_i32 s25, s24, 31
	s_add_u32 s20, s4, 0x1c0
	s_addc_u32 s21, s5, 0
	s_and_b32 s33, s0, 0xffff
	v_mad_u64_u32 v[2:3], s[0:1], s33, v2, v[0:1]
	v_cmp_gt_i64_e32 vcc, s[24:25], v[2:3]
	s_and_saveexec_b64 s[0:1], vcc
	s_cbranch_execz .LBB10_13
; %bb.1:
	s_load_dwordx8 s[8:15], s[4:5], 0x20
	s_load_dwordx4 s[16:19], s[4:5], 0x8
	s_load_dwordx2 s[6:7], s[4:5], 0x18
	s_load_dwordx2 s[40:41], s[4:5], 0x1b8
	s_load_dwordx4 s[0:3], s[4:5], 0x1a8
	s_load_dword s38, s[20:21], 0x0
	s_waitcnt lgkmcnt(0)
	s_add_i32 s15, s8, -1
	s_load_dwordx4 s[20:23], s[4:5], 0xe4
	s_load_dwordx2 s[30:31], s[4:5], 0xf4
	s_cmp_gt_u32 s15, 1
	s_cselect_b64 s[26:27], -1, 0
	s_cmp_lg_u32 s8, 0
	s_cselect_b64 s[28:29], -1, 0
	s_min_u32 s39, s15, 15
	s_cmp_gt_u32 s8, 1
	s_waitcnt lgkmcnt(0)
	s_mov_b32 s15, s21
	s_mov_b32 s21, s22
	s_cselect_b64 s[34:35], -1, 0
	s_add_i32 s22, s39, 1
	s_lshl_b64 s[36:37], s[40:41], 4
	s_and_b32 s22, s22, 30
	s_bitcmp0_b32 s39, 0
	s_mov_b32 s8, s13
	s_mul_i32 s13, s38, s33
	s_cselect_b64 s[38:39], -1, 0
	s_lshl_b64 s[2:3], s[2:3], 3
	s_lshl_b64 s[42:43], s[40:41], 3
	s_sub_u32 s33, 0, s42
	s_subb_u32 s45, 0, s43
	s_lshl_b64 s[42:43], s[0:1], 3
	s_mov_b32 s44, 0
	s_add_u32 s4, s4, 12
	s_mov_b64 s[40:41], 0
	s_addc_u32 s5, s5, 0
	v_mov_b32_e32 v8, s17
	v_mov_b32_e32 v9, s19
	;; [unrolled: 1-line block ×8, first 2 shown]
	s_branch .LBB10_3
.LBB10_2:                               ;   in Loop: Header=BB10_3 Depth=1
	v_mov_b32_e32 v7, v1
	v_lshlrev_b64 v[6:7], 3, v[6:7]
	v_add_co_u32_e32 v6, vcc, s18, v6
	v_mov_b32_e32 v5, v1
	v_addc_co_u32_e32 v7, vcc, v9, v7, vcc
	v_lshlrev_b64 v[4:5], 3, v[4:5]
	v_add_co_u32_e32 v4, vcc, s6, v4
	v_addc_co_u32_e32 v5, vcc, v10, v5, vcc
	v_add_co_u32_e32 v16, vcc, s2, v6
	v_addc_co_u32_e32 v17, vcc, v7, v11, vcc
	;; [unrolled: 2-line block ×3, first 2 shown]
	global_load_dwordx2 v[18:19], v[16:17], off
	v_add_co_u32_e32 v16, vcc, s2, v16
	v_addc_co_u32_e32 v17, vcc, v17, v11, vcc
	global_load_dwordx2 v[22:23], v[20:21], off
	v_add_co_u32_e32 v20, vcc, s33, v20
	global_load_dwordx2 v[16:17], v[16:17], off
	v_addc_co_u32_e32 v21, vcc, v21, v13, vcc
	global_load_dwordx2 v[24:25], v[6:7], off
	global_load_dwordx2 v[26:27], v[4:5], off
	global_load_dwordx2 v[28:29], v[20:21], off
	v_add_co_u32_e32 v2, vcc, s13, v2
	v_lshlrev_b64 v[4:5], 3, v[0:1]
	v_addc_co_u32_e32 v3, vcc, v3, v15, vcc
	v_add_co_u32_e32 v4, vcc, s16, v4
	v_addc_co_u32_e32 v5, vcc, v8, v5, vcc
	v_cmp_le_i64_e32 vcc, s[24:25], v[2:3]
	v_add_co_u32_e64 v6, s[0:1], s42, v4
	v_addc_co_u32_e64 v7, s[0:1], v5, v14, s[0:1]
	s_or_b64 s[40:41], vcc, s[40:41]
	v_add_co_u32_e32 v20, vcc, s42, v6
	v_addc_co_u32_e32 v21, vcc, v7, v14, vcc
	s_waitcnt vmcnt(2)
	v_mul_f64 v[30:31], v[22:23], v[24:25]
	s_waitcnt vmcnt(1)
	v_mul_f64 v[32:33], v[18:19], v[26:27]
	;; [unrolled: 2-line block ×3, first 2 shown]
	v_fma_f64 v[18:19], v[18:19], v[22:23], -v[34:35]
	v_fma_f64 v[16:17], v[16:17], v[26:27], -v[30:31]
	;; [unrolled: 1-line block ×3, first 2 shown]
	global_store_dwordx2 v[4:5], v[18:19], off
	global_store_dwordx2 v[6:7], v[16:17], off
	;; [unrolled: 1-line block ×3, first 2 shown]
	s_andn2_b64 exec, exec, s[40:41]
	s_cbranch_execz .LBB10_13
.LBB10_3:                               ; =>This Loop Header: Depth=1
                                        ;     Child Loop BB10_6 Depth 2
	s_andn2_b64 vcc, exec, s[26:27]
	s_cbranch_vccnz .LBB10_10
; %bb.4:                                ;   in Loop: Header=BB10_3 Depth=1
	s_andn2_b64 vcc, exec, s[28:29]
	v_mov_b32_e32 v4, 0
	v_mov_b32_e32 v6, 0
	v_mov_b32_e32 v0, 0
	s_cbranch_vccnz .LBB10_9
; %bb.5:                                ;   in Loop: Header=BB10_3 Depth=1
	v_mov_b32_e32 v0, 0
	s_mov_b32 s3, s22
	s_mov_b64 s[0:1], s[4:5]
	v_mov_b32_e32 v5, v2
	v_mov_b32_e32 v6, v0
	;; [unrolled: 1-line block ×3, first 2 shown]
.LBB10_6:                               ;   Parent Loop BB10_3 Depth=1
                                        ; =>  This Inner Loop Header: Depth=2
	s_mov_b64 s[52:53], s[0:1]
	s_load_dwordx4 s[44:47], s[52:53], 0x18
	s_load_dwordx2 s[54:55], s[52:53], 0x28
	s_load_dwordx2 s[56:57], s[52:53], 0xe8
	s_load_dwordx4 s[48:51], s[52:53], 0xd8
	s_add_u32 s0, s52, 24
	s_waitcnt lgkmcnt(0)
	v_mul_hi_u32 v7, s45, v5
	v_add_u32_e32 v7, v5, v7
	v_lshrrev_b32_e32 v7, s46, v7
	v_mul_lo_u32 v16, v7, s44
	v_mul_hi_u32 v17, s54, v7
	v_sub_u32_e32 v5, v5, v16
	v_add_u32_e32 v16, v7, v17
	v_mul_lo_u32 v17, v5, s48
	v_mul_lo_u32 v18, v5, s49
	;; [unrolled: 1-line block ×3, first 2 shown]
	v_lshrrev_b32_e32 v5, s55, v16
	v_mul_lo_u32 v16, v5, s47
	v_sub_u32_e32 v7, v7, v16
	s_addc_u32 s1, s53, 0
	s_add_i32 s3, s3, -2
	v_mul_lo_u32 v16, v7, s51
	v_mul_lo_u32 v20, v7, s56
	;; [unrolled: 1-line block ×3, first 2 shown]
	s_cmp_lg_u32 s3, 0
	v_add3_u32 v0, v17, v0, v16
	v_add3_u32 v4, v19, v4, v7
	;; [unrolled: 1-line block ×3, first 2 shown]
	s_cbranch_scc1 .LBB10_6
; %bb.7:                                ;   in Loop: Header=BB10_3 Depth=1
	s_andn2_b64 vcc, exec, s[38:39]
	s_cbranch_vccnz .LBB10_9
; %bb.8:                                ;   in Loop: Header=BB10_3 Depth=1
	s_load_dwordx2 s[44:45], s[0:1], 0x18
	s_load_dword s3, s[0:1], 0x20
	s_load_dword s7, s[0:1], 0xe0
	s_load_dwordx2 s[46:47], s[0:1], 0xd8
	s_waitcnt lgkmcnt(0)
	v_mul_hi_u32 v7, s45, v5
	v_add_u32_e32 v7, v5, v7
	v_lshrrev_b32_e32 v7, s3, v7
	v_mul_lo_u32 v7, v7, s44
	v_sub_u32_e32 v5, v5, v7
	v_mad_u64_u32 v[16:17], s[0:1], v5, s46, v[0:1]
	v_mad_u64_u32 v[6:7], s[0:1], v5, s47, v[6:7]
	;; [unrolled: 1-line block ×3, first 2 shown]
	v_mov_b32_e32 v0, v16
.LBB10_9:                               ;   in Loop: Header=BB10_3 Depth=1
	s_cbranch_execnz .LBB10_2
	s_branch .LBB10_11
.LBB10_10:                              ;   in Loop: Header=BB10_3 Depth=1
                                        ; implicit-def: $vgpr4
                                        ; implicit-def: $vgpr6
.LBB10_11:                              ;   in Loop: Header=BB10_3 Depth=1
	v_mul_hi_u32 v0, v2, s10
	v_add_u32_e32 v0, v0, v2
	v_lshrrev_b32_e32 v5, s11, v0
	v_mul_lo_u32 v0, v5, s9
	v_sub_u32_e32 v6, v2, v0
	v_mul_lo_u32 v0, v6, s20
	v_mul_lo_u32 v4, v6, s21
	s_andn2_b64 vcc, exec, s[34:35]
	v_mul_lo_u32 v6, v6, s15
	s_cbranch_vccnz .LBB10_2
; %bb.12:                               ;   in Loop: Header=BB10_3 Depth=1
	v_mul_hi_u32 v7, s8, v5
	v_add_u32_e32 v7, v5, v7
	v_lshrrev_b32_e32 v7, s14, v7
	v_mul_lo_u32 v7, v7, s12
	v_sub_u32_e32 v5, v5, v7
	v_mad_u64_u32 v[16:17], s[0:1], v5, s23, v[0:1]
	v_mad_u64_u32 v[6:7], s[0:1], v5, s30, v[6:7]
	;; [unrolled: 1-line block ×3, first 2 shown]
	v_mov_b32_e32 v0, v16
	s_branch .LBB10_2
.LBB10_13:
	s_endpgm
	.section	.rodata,"a",@progbits
	.p2align	6, 0x0
	.amdhsa_kernel _ZN2at6native12cross_kernelId16OffsetCalculatorILi3EjLb0EElEEviPT_PKS4_S7_T0_T1_S9_S9_
		.amdhsa_group_segment_fixed_size 0
		.amdhsa_private_segment_fixed_size 0
		.amdhsa_kernarg_size 704
		.amdhsa_user_sgpr_count 6
		.amdhsa_user_sgpr_private_segment_buffer 1
		.amdhsa_user_sgpr_dispatch_ptr 0
		.amdhsa_user_sgpr_queue_ptr 0
		.amdhsa_user_sgpr_kernarg_segment_ptr 1
		.amdhsa_user_sgpr_dispatch_id 0
		.amdhsa_user_sgpr_flat_scratch_init 0
		.amdhsa_user_sgpr_kernarg_preload_length 0
		.amdhsa_user_sgpr_kernarg_preload_offset 0
		.amdhsa_user_sgpr_private_segment_size 0
		.amdhsa_uses_dynamic_stack 0
		.amdhsa_system_sgpr_private_segment_wavefront_offset 0
		.amdhsa_system_sgpr_workgroup_id_x 1
		.amdhsa_system_sgpr_workgroup_id_y 0
		.amdhsa_system_sgpr_workgroup_id_z 0
		.amdhsa_system_sgpr_workgroup_info 0
		.amdhsa_system_vgpr_workitem_id 0
		.amdhsa_next_free_vgpr 36
		.amdhsa_next_free_sgpr 58
		.amdhsa_accum_offset 36
		.amdhsa_reserve_vcc 1
		.amdhsa_reserve_flat_scratch 0
		.amdhsa_float_round_mode_32 0
		.amdhsa_float_round_mode_16_64 0
		.amdhsa_float_denorm_mode_32 3
		.amdhsa_float_denorm_mode_16_64 3
		.amdhsa_dx10_clamp 1
		.amdhsa_ieee_mode 1
		.amdhsa_fp16_overflow 0
		.amdhsa_tg_split 0
		.amdhsa_exception_fp_ieee_invalid_op 0
		.amdhsa_exception_fp_denorm_src 0
		.amdhsa_exception_fp_ieee_div_zero 0
		.amdhsa_exception_fp_ieee_overflow 0
		.amdhsa_exception_fp_ieee_underflow 0
		.amdhsa_exception_fp_ieee_inexact 0
		.amdhsa_exception_int_div_zero 0
	.end_amdhsa_kernel
	.section	.text._ZN2at6native12cross_kernelId16OffsetCalculatorILi3EjLb0EElEEviPT_PKS4_S7_T0_T1_S9_S9_,"axG",@progbits,_ZN2at6native12cross_kernelId16OffsetCalculatorILi3EjLb0EElEEviPT_PKS4_S7_T0_T1_S9_S9_,comdat
.Lfunc_end10:
	.size	_ZN2at6native12cross_kernelId16OffsetCalculatorILi3EjLb0EElEEviPT_PKS4_S7_T0_T1_S9_S9_, .Lfunc_end10-_ZN2at6native12cross_kernelId16OffsetCalculatorILi3EjLb0EElEEviPT_PKS4_S7_T0_T1_S9_S9_
                                        ; -- End function
	.section	.AMDGPU.csdata,"",@progbits
; Kernel info:
; codeLenInByte = 1024
; NumSgprs: 62
; NumVgprs: 36
; NumAgprs: 0
; TotalNumVgprs: 36
; ScratchSize: 0
; MemoryBound: 0
; FloatMode: 240
; IeeeMode: 1
; LDSByteSize: 0 bytes/workgroup (compile time only)
; SGPRBlocks: 7
; VGPRBlocks: 4
; NumSGPRsForWavesPerEU: 62
; NumVGPRsForWavesPerEU: 36
; AccumOffset: 36
; Occupancy: 8
; WaveLimiterHint : 1
; COMPUTE_PGM_RSRC2:SCRATCH_EN: 0
; COMPUTE_PGM_RSRC2:USER_SGPR: 6
; COMPUTE_PGM_RSRC2:TRAP_HANDLER: 0
; COMPUTE_PGM_RSRC2:TGID_X_EN: 1
; COMPUTE_PGM_RSRC2:TGID_Y_EN: 0
; COMPUTE_PGM_RSRC2:TGID_Z_EN: 0
; COMPUTE_PGM_RSRC2:TIDIG_COMP_CNT: 0
; COMPUTE_PGM_RSRC3_GFX90A:ACCUM_OFFSET: 8
; COMPUTE_PGM_RSRC3_GFX90A:TG_SPLIT: 0
	.section	.text._ZN2at6native12cross_kernelId16OffsetCalculatorILi3EjLb0EEiEEviPT_PKS4_S7_T0_T1_S9_S9_,"axG",@progbits,_ZN2at6native12cross_kernelId16OffsetCalculatorILi3EjLb0EEiEEviPT_PKS4_S7_T0_T1_S9_S9_,comdat
	.protected	_ZN2at6native12cross_kernelId16OffsetCalculatorILi3EjLb0EEiEEviPT_PKS4_S7_T0_T1_S9_S9_ ; -- Begin function _ZN2at6native12cross_kernelId16OffsetCalculatorILi3EjLb0EEiEEviPT_PKS4_S7_T0_T1_S9_S9_
	.globl	_ZN2at6native12cross_kernelId16OffsetCalculatorILi3EjLb0EEiEEviPT_PKS4_S7_T0_T1_S9_S9_
	.p2align	8
	.type	_ZN2at6native12cross_kernelId16OffsetCalculatorILi3EjLb0EEiEEviPT_PKS4_S7_T0_T1_S9_S9_,@function
_ZN2at6native12cross_kernelId16OffsetCalculatorILi3EjLb0EEiEEviPT_PKS4_S7_T0_T1_S9_S9_: ; @_ZN2at6native12cross_kernelId16OffsetCalculatorILi3EjLb0EEiEEviPT_PKS4_S7_T0_T1_S9_S9_
; %bb.0:
	s_load_dword s24, s[4:5], 0x0
	s_load_dword s0, s[4:5], 0x1bc
	v_mov_b32_e32 v1, 0
	v_mov_b32_e32 v2, s6
	s_waitcnt lgkmcnt(0)
	s_ashr_i32 s25, s24, 31
	s_add_u32 s20, s4, 0x1b0
	s_addc_u32 s21, s5, 0
	s_and_b32 s33, s0, 0xffff
	v_mad_u64_u32 v[2:3], s[0:1], s33, v2, v[0:1]
	v_cmp_gt_i64_e32 vcc, s[24:25], v[2:3]
	s_and_saveexec_b64 s[0:1], vcc
	s_cbranch_execz .LBB11_13
; %bb.1:
	s_load_dwordx8 s[8:15], s[4:5], 0x20
	s_load_dwordx4 s[16:19], s[4:5], 0x8
	s_load_dwordx2 s[6:7], s[4:5], 0x18
	s_load_dwordx4 s[0:3], s[4:5], 0x1a4
	s_waitcnt lgkmcnt(0)
	s_load_dword s3, s[20:21], 0x0
	s_add_i32 s15, s8, -1
                                        ; kill: killed $sgpr20 killed $sgpr21
	s_cmp_gt_u32 s15, 1
	s_load_dwordx4 s[20:23], s[4:5], 0xe4
	s_load_dwordx2 s[30:31], s[4:5], 0xf4
	s_cselect_b64 s[26:27], -1, 0
	s_cmp_lg_u32 s8, 0
	s_cselect_b64 s[28:29], -1, 0
	s_min_u32 s36, s15, 15
	s_cmp_gt_u32 s8, 1
	s_cselect_b64 s[34:35], -1, 0
	s_mov_b32 s8, s13
	s_lshl_b32 s42, s2, 1
	s_waitcnt lgkmcnt(0)
	s_mul_i32 s13, s3, s33
	s_add_i32 s3, s36, 1
	s_mov_b32 s15, s21
	s_mov_b32 s21, s22
	s_ashr_i32 s39, s1, 31
	s_mov_b32 s38, s1
	s_ashr_i32 s43, s42, 31
	s_ashr_i32 s1, s0, 31
	s_and_b32 s22, s3, 30
	s_bitcmp0_b32 s36, 0
	s_cselect_b64 s[36:37], -1, 0
	s_ashr_i32 s3, s2, 31
	s_lshl_b64 s[38:39], s[38:39], 3
	s_lshl_b64 s[40:41], s[2:3], 3
	s_sub_u32 s33, 0, s40
	s_subb_u32 s45, 0, s41
	s_lshl_b64 s[40:41], s[0:1], 3
	s_add_u32 s4, s4, 12
	s_mov_b32 s44, 0
	s_addc_u32 s5, s5, 0
	s_lshl_b64 s[42:43], s[42:43], 3
	s_mov_b64 s[2:3], 0
	v_mov_b32_e32 v8, s17
	v_mov_b32_e32 v9, s19
	;; [unrolled: 1-line block ×8, first 2 shown]
	s_branch .LBB11_3
.LBB11_2:                               ;   in Loop: Header=BB11_3 Depth=1
	v_mov_b32_e32 v7, v1
	v_lshlrev_b64 v[6:7], 3, v[6:7]
	v_add_co_u32_e32 v6, vcc, s18, v6
	v_mov_b32_e32 v5, v1
	v_addc_co_u32_e32 v7, vcc, v9, v7, vcc
	v_lshlrev_b64 v[4:5], 3, v[4:5]
	v_add_co_u32_e32 v4, vcc, s6, v4
	v_addc_co_u32_e32 v5, vcc, v10, v5, vcc
	v_add_co_u32_e32 v16, vcc, s38, v6
	v_addc_co_u32_e32 v17, vcc, v7, v11, vcc
	;; [unrolled: 2-line block ×3, first 2 shown]
	global_load_dwordx2 v[18:19], v[16:17], off
	v_add_co_u32_e32 v16, vcc, s38, v16
	v_addc_co_u32_e32 v17, vcc, v17, v11, vcc
	global_load_dwordx2 v[22:23], v[20:21], off
	v_add_co_u32_e32 v20, vcc, s33, v20
	global_load_dwordx2 v[16:17], v[16:17], off
	v_addc_co_u32_e32 v21, vcc, v21, v13, vcc
	global_load_dwordx2 v[24:25], v[6:7], off
	global_load_dwordx2 v[26:27], v[4:5], off
	global_load_dwordx2 v[28:29], v[20:21], off
	v_add_co_u32_e32 v2, vcc, s13, v2
	v_lshlrev_b64 v[4:5], 3, v[0:1]
	v_addc_co_u32_e32 v3, vcc, v3, v15, vcc
	v_add_co_u32_e32 v4, vcc, s16, v4
	v_addc_co_u32_e32 v5, vcc, v8, v5, vcc
	v_cmp_le_i64_e32 vcc, s[24:25], v[2:3]
	v_add_co_u32_e64 v6, s[0:1], s40, v4
	v_addc_co_u32_e64 v7, s[0:1], v5, v14, s[0:1]
	s_or_b64 s[2:3], vcc, s[2:3]
	v_add_co_u32_e32 v20, vcc, s40, v6
	v_addc_co_u32_e32 v21, vcc, v7, v14, vcc
	s_waitcnt vmcnt(2)
	v_mul_f64 v[30:31], v[22:23], v[24:25]
	s_waitcnt vmcnt(1)
	v_mul_f64 v[32:33], v[18:19], v[26:27]
	;; [unrolled: 2-line block ×3, first 2 shown]
	v_fma_f64 v[18:19], v[18:19], v[22:23], -v[34:35]
	v_fma_f64 v[16:17], v[16:17], v[26:27], -v[30:31]
	;; [unrolled: 1-line block ×3, first 2 shown]
	global_store_dwordx2 v[4:5], v[18:19], off
	global_store_dwordx2 v[6:7], v[16:17], off
	;; [unrolled: 1-line block ×3, first 2 shown]
	s_andn2_b64 exec, exec, s[2:3]
	s_cbranch_execz .LBB11_13
.LBB11_3:                               ; =>This Loop Header: Depth=1
                                        ;     Child Loop BB11_6 Depth 2
	s_andn2_b64 vcc, exec, s[26:27]
	s_cbranch_vccnz .LBB11_10
; %bb.4:                                ;   in Loop: Header=BB11_3 Depth=1
	s_andn2_b64 vcc, exec, s[28:29]
	v_mov_b32_e32 v4, 0
	v_mov_b32_e32 v6, 0
	;; [unrolled: 1-line block ×3, first 2 shown]
	s_cbranch_vccnz .LBB11_9
; %bb.5:                                ;   in Loop: Header=BB11_3 Depth=1
	v_mov_b32_e32 v0, 0
	s_mov_b32 s7, s22
	s_mov_b64 s[0:1], s[4:5]
	v_mov_b32_e32 v5, v2
	v_mov_b32_e32 v6, v0
	;; [unrolled: 1-line block ×3, first 2 shown]
.LBB11_6:                               ;   Parent Loop BB11_3 Depth=1
                                        ; =>  This Inner Loop Header: Depth=2
	s_mov_b64 s[52:53], s[0:1]
	s_load_dwordx4 s[44:47], s[52:53], 0x18
	s_load_dwordx2 s[54:55], s[52:53], 0x28
	s_load_dwordx2 s[56:57], s[52:53], 0xe8
	s_load_dwordx4 s[48:51], s[52:53], 0xd8
	s_add_u32 s0, s52, 24
	s_waitcnt lgkmcnt(0)
	v_mul_hi_u32 v7, s45, v5
	v_add_u32_e32 v7, v5, v7
	v_lshrrev_b32_e32 v7, s46, v7
	v_mul_lo_u32 v16, v7, s44
	v_mul_hi_u32 v17, s54, v7
	v_sub_u32_e32 v5, v5, v16
	v_add_u32_e32 v16, v7, v17
	v_mul_lo_u32 v17, v5, s48
	v_mul_lo_u32 v18, v5, s49
	;; [unrolled: 1-line block ×3, first 2 shown]
	v_lshrrev_b32_e32 v5, s55, v16
	v_mul_lo_u32 v16, v5, s47
	v_sub_u32_e32 v7, v7, v16
	s_addc_u32 s1, s53, 0
	s_add_i32 s7, s7, -2
	v_mul_lo_u32 v16, v7, s51
	v_mul_lo_u32 v20, v7, s56
	v_mul_lo_u32 v7, v7, s57
	s_cmp_lg_u32 s7, 0
	v_add3_u32 v0, v17, v0, v16
	v_add3_u32 v4, v19, v4, v7
	;; [unrolled: 1-line block ×3, first 2 shown]
	s_cbranch_scc1 .LBB11_6
; %bb.7:                                ;   in Loop: Header=BB11_3 Depth=1
	s_andn2_b64 vcc, exec, s[36:37]
	s_cbranch_vccnz .LBB11_9
; %bb.8:                                ;   in Loop: Header=BB11_3 Depth=1
	s_load_dwordx2 s[44:45], s[0:1], 0x18
	s_load_dword s7, s[0:1], 0x20
	s_load_dword s17, s[0:1], 0xe0
	s_load_dwordx2 s[46:47], s[0:1], 0xd8
	s_waitcnt lgkmcnt(0)
	v_mul_hi_u32 v7, s45, v5
	v_add_u32_e32 v7, v5, v7
	v_lshrrev_b32_e32 v7, s7, v7
	v_mul_lo_u32 v7, v7, s44
	v_sub_u32_e32 v5, v5, v7
	v_mad_u64_u32 v[16:17], s[0:1], v5, s46, v[0:1]
	v_mad_u64_u32 v[6:7], s[0:1], v5, s47, v[6:7]
	;; [unrolled: 1-line block ×3, first 2 shown]
	v_mov_b32_e32 v0, v16
.LBB11_9:                               ;   in Loop: Header=BB11_3 Depth=1
	s_cbranch_execnz .LBB11_2
	s_branch .LBB11_11
.LBB11_10:                              ;   in Loop: Header=BB11_3 Depth=1
                                        ; implicit-def: $vgpr4
                                        ; implicit-def: $vgpr6
.LBB11_11:                              ;   in Loop: Header=BB11_3 Depth=1
	v_mul_hi_u32 v0, v2, s10
	v_add_u32_e32 v0, v0, v2
	v_lshrrev_b32_e32 v5, s11, v0
	v_mul_lo_u32 v0, v5, s9
	v_sub_u32_e32 v6, v2, v0
	v_mul_lo_u32 v0, v6, s20
	v_mul_lo_u32 v4, v6, s21
	s_andn2_b64 vcc, exec, s[34:35]
	v_mul_lo_u32 v6, v6, s15
	s_cbranch_vccnz .LBB11_2
; %bb.12:                               ;   in Loop: Header=BB11_3 Depth=1
	v_mul_hi_u32 v7, s8, v5
	v_add_u32_e32 v7, v5, v7
	v_lshrrev_b32_e32 v7, s14, v7
	v_mul_lo_u32 v7, v7, s12
	v_sub_u32_e32 v5, v5, v7
	v_mad_u64_u32 v[16:17], s[0:1], v5, s23, v[0:1]
	v_mad_u64_u32 v[6:7], s[0:1], v5, s30, v[6:7]
	;; [unrolled: 1-line block ×3, first 2 shown]
	v_mov_b32_e32 v0, v16
	s_branch .LBB11_2
.LBB11_13:
	s_endpgm
	.section	.rodata,"a",@progbits
	.p2align	6, 0x0
	.amdhsa_kernel _ZN2at6native12cross_kernelId16OffsetCalculatorILi3EjLb0EEiEEviPT_PKS4_S7_T0_T1_S9_S9_
		.amdhsa_group_segment_fixed_size 0
		.amdhsa_private_segment_fixed_size 0
		.amdhsa_kernarg_size 688
		.amdhsa_user_sgpr_count 6
		.amdhsa_user_sgpr_private_segment_buffer 1
		.amdhsa_user_sgpr_dispatch_ptr 0
		.amdhsa_user_sgpr_queue_ptr 0
		.amdhsa_user_sgpr_kernarg_segment_ptr 1
		.amdhsa_user_sgpr_dispatch_id 0
		.amdhsa_user_sgpr_flat_scratch_init 0
		.amdhsa_user_sgpr_kernarg_preload_length 0
		.amdhsa_user_sgpr_kernarg_preload_offset 0
		.amdhsa_user_sgpr_private_segment_size 0
		.amdhsa_uses_dynamic_stack 0
		.amdhsa_system_sgpr_private_segment_wavefront_offset 0
		.amdhsa_system_sgpr_workgroup_id_x 1
		.amdhsa_system_sgpr_workgroup_id_y 0
		.amdhsa_system_sgpr_workgroup_id_z 0
		.amdhsa_system_sgpr_workgroup_info 0
		.amdhsa_system_vgpr_workitem_id 0
		.amdhsa_next_free_vgpr 36
		.amdhsa_next_free_sgpr 58
		.amdhsa_accum_offset 36
		.amdhsa_reserve_vcc 1
		.amdhsa_reserve_flat_scratch 0
		.amdhsa_float_round_mode_32 0
		.amdhsa_float_round_mode_16_64 0
		.amdhsa_float_denorm_mode_32 3
		.amdhsa_float_denorm_mode_16_64 3
		.amdhsa_dx10_clamp 1
		.amdhsa_ieee_mode 1
		.amdhsa_fp16_overflow 0
		.amdhsa_tg_split 0
		.amdhsa_exception_fp_ieee_invalid_op 0
		.amdhsa_exception_fp_denorm_src 0
		.amdhsa_exception_fp_ieee_div_zero 0
		.amdhsa_exception_fp_ieee_overflow 0
		.amdhsa_exception_fp_ieee_underflow 0
		.amdhsa_exception_fp_ieee_inexact 0
		.amdhsa_exception_int_div_zero 0
	.end_amdhsa_kernel
	.section	.text._ZN2at6native12cross_kernelId16OffsetCalculatorILi3EjLb0EEiEEviPT_PKS4_S7_T0_T1_S9_S9_,"axG",@progbits,_ZN2at6native12cross_kernelId16OffsetCalculatorILi3EjLb0EEiEEviPT_PKS4_S7_T0_T1_S9_S9_,comdat
.Lfunc_end11:
	.size	_ZN2at6native12cross_kernelId16OffsetCalculatorILi3EjLb0EEiEEviPT_PKS4_S7_T0_T1_S9_S9_, .Lfunc_end11-_ZN2at6native12cross_kernelId16OffsetCalculatorILi3EjLb0EEiEEviPT_PKS4_S7_T0_T1_S9_S9_
                                        ; -- End function
	.section	.AMDGPU.csdata,"",@progbits
; Kernel info:
; codeLenInByte = 1040
; NumSgprs: 62
; NumVgprs: 36
; NumAgprs: 0
; TotalNumVgprs: 36
; ScratchSize: 0
; MemoryBound: 0
; FloatMode: 240
; IeeeMode: 1
; LDSByteSize: 0 bytes/workgroup (compile time only)
; SGPRBlocks: 7
; VGPRBlocks: 4
; NumSGPRsForWavesPerEU: 62
; NumVGPRsForWavesPerEU: 36
; AccumOffset: 36
; Occupancy: 8
; WaveLimiterHint : 1
; COMPUTE_PGM_RSRC2:SCRATCH_EN: 0
; COMPUTE_PGM_RSRC2:USER_SGPR: 6
; COMPUTE_PGM_RSRC2:TRAP_HANDLER: 0
; COMPUTE_PGM_RSRC2:TGID_X_EN: 1
; COMPUTE_PGM_RSRC2:TGID_Y_EN: 0
; COMPUTE_PGM_RSRC2:TGID_Z_EN: 0
; COMPUTE_PGM_RSRC2:TIDIG_COMP_CNT: 0
; COMPUTE_PGM_RSRC3_GFX90A:ACCUM_OFFSET: 8
; COMPUTE_PGM_RSRC3_GFX90A:TG_SPLIT: 0
	.section	.text._ZN2at6native12cross_kernelIf16OffsetCalculatorILi3EjLb0EElEEviPT_PKS4_S7_T0_T1_S9_S9_,"axG",@progbits,_ZN2at6native12cross_kernelIf16OffsetCalculatorILi3EjLb0EElEEviPT_PKS4_S7_T0_T1_S9_S9_,comdat
	.protected	_ZN2at6native12cross_kernelIf16OffsetCalculatorILi3EjLb0EElEEviPT_PKS4_S7_T0_T1_S9_S9_ ; -- Begin function _ZN2at6native12cross_kernelIf16OffsetCalculatorILi3EjLb0EElEEviPT_PKS4_S7_T0_T1_S9_S9_
	.globl	_ZN2at6native12cross_kernelIf16OffsetCalculatorILi3EjLb0EElEEviPT_PKS4_S7_T0_T1_S9_S9_
	.p2align	8
	.type	_ZN2at6native12cross_kernelIf16OffsetCalculatorILi3EjLb0EElEEviPT_PKS4_S7_T0_T1_S9_S9_,@function
_ZN2at6native12cross_kernelIf16OffsetCalculatorILi3EjLb0EElEEviPT_PKS4_S7_T0_T1_S9_S9_: ; @_ZN2at6native12cross_kernelIf16OffsetCalculatorILi3EjLb0EElEEviPT_PKS4_S7_T0_T1_S9_S9_
; %bb.0:
	s_load_dword s24, s[4:5], 0x0
	s_load_dword s0, s[4:5], 0x1cc
	v_mov_b32_e32 v1, 0
	v_mov_b32_e32 v2, s6
	s_waitcnt lgkmcnt(0)
	s_ashr_i32 s25, s24, 31
	s_add_u32 s20, s4, 0x1c0
	s_addc_u32 s21, s5, 0
	s_and_b32 s33, s0, 0xffff
	v_mad_u64_u32 v[2:3], s[0:1], s33, v2, v[0:1]
	v_cmp_gt_i64_e32 vcc, s[24:25], v[2:3]
	s_and_saveexec_b64 s[0:1], vcc
	s_cbranch_execz .LBB12_13
; %bb.1:
	s_load_dwordx8 s[8:15], s[4:5], 0x20
	s_load_dwordx4 s[16:19], s[4:5], 0x8
	s_load_dwordx2 s[6:7], s[4:5], 0x18
	s_load_dwordx2 s[40:41], s[4:5], 0x1b8
	s_load_dwordx4 s[0:3], s[4:5], 0x1a8
	s_load_dword s38, s[20:21], 0x0
	s_waitcnt lgkmcnt(0)
	s_add_i32 s15, s8, -1
	s_load_dwordx4 s[20:23], s[4:5], 0xe4
	s_load_dwordx2 s[30:31], s[4:5], 0xf4
	s_cmp_gt_u32 s15, 1
	s_cselect_b64 s[26:27], -1, 0
	s_cmp_lg_u32 s8, 0
	s_cselect_b64 s[28:29], -1, 0
	s_min_u32 s39, s15, 15
	s_cmp_gt_u32 s8, 1
	s_waitcnt lgkmcnt(0)
	s_mov_b32 s15, s21
	s_mov_b32 s21, s22
	s_cselect_b64 s[34:35], -1, 0
	s_add_i32 s22, s39, 1
	s_lshl_b64 s[36:37], s[40:41], 3
	s_and_b32 s22, s22, 30
	s_bitcmp0_b32 s39, 0
	s_mov_b32 s8, s13
	s_mul_i32 s13, s38, s33
	s_cselect_b64 s[38:39], -1, 0
	s_lshl_b64 s[2:3], s[2:3], 2
	s_lshl_b64 s[42:43], s[40:41], 2
	s_sub_u32 s33, 0, s42
	s_subb_u32 s45, 0, s43
	s_lshl_b64 s[42:43], s[0:1], 2
	s_mov_b32 s44, 0
	s_add_u32 s4, s4, 12
	s_mov_b64 s[40:41], 0
	s_addc_u32 s5, s5, 0
	v_mov_b32_e32 v8, s17
	v_mov_b32_e32 v9, s19
	;; [unrolled: 1-line block ×8, first 2 shown]
	s_branch .LBB12_3
.LBB12_2:                               ;   in Loop: Header=BB12_3 Depth=1
	v_mov_b32_e32 v7, v1
	v_lshlrev_b64 v[6:7], 2, v[6:7]
	v_add_co_u32_e32 v6, vcc, s18, v6
	v_mov_b32_e32 v5, v1
	v_addc_co_u32_e32 v7, vcc, v9, v7, vcc
	v_lshlrev_b64 v[4:5], 2, v[4:5]
	v_add_co_u32_e32 v4, vcc, s6, v4
	v_addc_co_u32_e32 v5, vcc, v10, v5, vcc
	v_add_co_u32_e32 v16, vcc, s2, v6
	v_addc_co_u32_e32 v17, vcc, v7, v11, vcc
	;; [unrolled: 2-line block ×3, first 2 shown]
	global_load_dword v20, v[16:17], off
	v_add_co_u32_e32 v16, vcc, s2, v16
	v_addc_co_u32_e32 v17, vcc, v17, v11, vcc
	global_load_dword v22, v[16:17], off
	v_add_co_u32_e32 v16, vcc, s33, v18
	global_load_dword v21, v[18:19], off
	v_addc_co_u32_e32 v17, vcc, v19, v13, vcc
	global_load_dword v18, v[6:7], off
	global_load_dword v19, v[4:5], off
	;; [unrolled: 1-line block ×3, first 2 shown]
	v_add_co_u32_e32 v2, vcc, s13, v2
	v_lshlrev_b64 v[4:5], 2, v[0:1]
	v_addc_co_u32_e32 v3, vcc, v3, v15, vcc
	v_add_co_u32_e32 v4, vcc, s16, v4
	v_addc_co_u32_e32 v5, vcc, v8, v5, vcc
	v_cmp_le_i64_e32 vcc, s[24:25], v[2:3]
	v_add_co_u32_e64 v6, s[0:1], s42, v4
	v_addc_co_u32_e64 v7, s[0:1], v5, v14, s[0:1]
	s_or_b64 s[40:41], vcc, s[40:41]
	v_add_co_u32_e32 v16, vcc, s42, v6
	v_addc_co_u32_e32 v17, vcc, v7, v14, vcc
	s_waitcnt vmcnt(2)
	v_mul_f32_e32 v0, v21, v18
	s_waitcnt vmcnt(1)
	v_mul_f32_e32 v24, v20, v19
	;; [unrolled: 2-line block ×3, first 2 shown]
	v_fma_f32 v0, v22, v19, -v0
	v_fma_f32 v19, v20, v21, -v25
	;; [unrolled: 1-line block ×3, first 2 shown]
	global_store_dword v[4:5], v19, off
	global_store_dword v[6:7], v0, off
	;; [unrolled: 1-line block ×3, first 2 shown]
	s_andn2_b64 exec, exec, s[40:41]
	s_cbranch_execz .LBB12_13
.LBB12_3:                               ; =>This Loop Header: Depth=1
                                        ;     Child Loop BB12_6 Depth 2
	s_andn2_b64 vcc, exec, s[26:27]
	s_cbranch_vccnz .LBB12_10
; %bb.4:                                ;   in Loop: Header=BB12_3 Depth=1
	s_andn2_b64 vcc, exec, s[28:29]
	v_mov_b32_e32 v4, 0
	v_mov_b32_e32 v6, 0
	;; [unrolled: 1-line block ×3, first 2 shown]
	s_cbranch_vccnz .LBB12_9
; %bb.5:                                ;   in Loop: Header=BB12_3 Depth=1
	v_mov_b32_e32 v0, 0
	s_mov_b32 s3, s22
	s_mov_b64 s[0:1], s[4:5]
	v_mov_b32_e32 v5, v2
	v_mov_b32_e32 v6, v0
	;; [unrolled: 1-line block ×3, first 2 shown]
.LBB12_6:                               ;   Parent Loop BB12_3 Depth=1
                                        ; =>  This Inner Loop Header: Depth=2
	s_mov_b64 s[52:53], s[0:1]
	s_load_dwordx4 s[44:47], s[52:53], 0x18
	s_load_dwordx2 s[54:55], s[52:53], 0x28
	s_load_dwordx2 s[56:57], s[52:53], 0xe8
	s_load_dwordx4 s[48:51], s[52:53], 0xd8
	s_add_u32 s0, s52, 24
	s_waitcnt lgkmcnt(0)
	v_mul_hi_u32 v7, s45, v5
	v_add_u32_e32 v7, v5, v7
	v_lshrrev_b32_e32 v7, s46, v7
	v_mul_lo_u32 v16, v7, s44
	v_mul_hi_u32 v17, s54, v7
	v_sub_u32_e32 v5, v5, v16
	v_add_u32_e32 v16, v7, v17
	v_mul_lo_u32 v17, v5, s48
	v_mul_lo_u32 v18, v5, s49
	;; [unrolled: 1-line block ×3, first 2 shown]
	v_lshrrev_b32_e32 v5, s55, v16
	v_mul_lo_u32 v16, v5, s47
	v_sub_u32_e32 v7, v7, v16
	s_addc_u32 s1, s53, 0
	s_add_i32 s3, s3, -2
	v_mul_lo_u32 v16, v7, s51
	v_mul_lo_u32 v20, v7, s56
	;; [unrolled: 1-line block ×3, first 2 shown]
	s_cmp_lg_u32 s3, 0
	v_add3_u32 v0, v17, v0, v16
	v_add3_u32 v4, v19, v4, v7
	;; [unrolled: 1-line block ×3, first 2 shown]
	s_cbranch_scc1 .LBB12_6
; %bb.7:                                ;   in Loop: Header=BB12_3 Depth=1
	s_andn2_b64 vcc, exec, s[38:39]
	s_cbranch_vccnz .LBB12_9
; %bb.8:                                ;   in Loop: Header=BB12_3 Depth=1
	s_load_dwordx2 s[44:45], s[0:1], 0x18
	s_load_dword s3, s[0:1], 0x20
	s_load_dword s7, s[0:1], 0xe0
	s_load_dwordx2 s[46:47], s[0:1], 0xd8
	s_waitcnt lgkmcnt(0)
	v_mul_hi_u32 v7, s45, v5
	v_add_u32_e32 v7, v5, v7
	v_lshrrev_b32_e32 v7, s3, v7
	v_mul_lo_u32 v7, v7, s44
	v_sub_u32_e32 v5, v5, v7
	v_mad_u64_u32 v[16:17], s[0:1], v5, s46, v[0:1]
	v_mad_u64_u32 v[6:7], s[0:1], v5, s47, v[6:7]
	;; [unrolled: 1-line block ×3, first 2 shown]
	v_mov_b32_e32 v0, v16
.LBB12_9:                               ;   in Loop: Header=BB12_3 Depth=1
	s_cbranch_execnz .LBB12_2
	s_branch .LBB12_11
.LBB12_10:                              ;   in Loop: Header=BB12_3 Depth=1
                                        ; implicit-def: $vgpr4
                                        ; implicit-def: $vgpr6
.LBB12_11:                              ;   in Loop: Header=BB12_3 Depth=1
	v_mul_hi_u32 v0, v2, s10
	v_add_u32_e32 v0, v0, v2
	v_lshrrev_b32_e32 v5, s11, v0
	v_mul_lo_u32 v0, v5, s9
	v_sub_u32_e32 v6, v2, v0
	v_mul_lo_u32 v0, v6, s20
	v_mul_lo_u32 v4, v6, s21
	s_andn2_b64 vcc, exec, s[34:35]
	v_mul_lo_u32 v6, v6, s15
	s_cbranch_vccnz .LBB12_2
; %bb.12:                               ;   in Loop: Header=BB12_3 Depth=1
	v_mul_hi_u32 v7, s8, v5
	v_add_u32_e32 v7, v5, v7
	v_lshrrev_b32_e32 v7, s14, v7
	v_mul_lo_u32 v7, v7, s12
	v_sub_u32_e32 v5, v5, v7
	v_mad_u64_u32 v[16:17], s[0:1], v5, s23, v[0:1]
	v_mad_u64_u32 v[6:7], s[0:1], v5, s30, v[6:7]
	;; [unrolled: 1-line block ×3, first 2 shown]
	v_mov_b32_e32 v0, v16
	s_branch .LBB12_2
.LBB12_13:
	s_endpgm
	.section	.rodata,"a",@progbits
	.p2align	6, 0x0
	.amdhsa_kernel _ZN2at6native12cross_kernelIf16OffsetCalculatorILi3EjLb0EElEEviPT_PKS4_S7_T0_T1_S9_S9_
		.amdhsa_group_segment_fixed_size 0
		.amdhsa_private_segment_fixed_size 0
		.amdhsa_kernarg_size 704
		.amdhsa_user_sgpr_count 6
		.amdhsa_user_sgpr_private_segment_buffer 1
		.amdhsa_user_sgpr_dispatch_ptr 0
		.amdhsa_user_sgpr_queue_ptr 0
		.amdhsa_user_sgpr_kernarg_segment_ptr 1
		.amdhsa_user_sgpr_dispatch_id 0
		.amdhsa_user_sgpr_flat_scratch_init 0
		.amdhsa_user_sgpr_kernarg_preload_length 0
		.amdhsa_user_sgpr_kernarg_preload_offset 0
		.amdhsa_user_sgpr_private_segment_size 0
		.amdhsa_uses_dynamic_stack 0
		.amdhsa_system_sgpr_private_segment_wavefront_offset 0
		.amdhsa_system_sgpr_workgroup_id_x 1
		.amdhsa_system_sgpr_workgroup_id_y 0
		.amdhsa_system_sgpr_workgroup_id_z 0
		.amdhsa_system_sgpr_workgroup_info 0
		.amdhsa_system_vgpr_workitem_id 0
		.amdhsa_next_free_vgpr 26
		.amdhsa_next_free_sgpr 58
		.amdhsa_accum_offset 28
		.amdhsa_reserve_vcc 1
		.amdhsa_reserve_flat_scratch 0
		.amdhsa_float_round_mode_32 0
		.amdhsa_float_round_mode_16_64 0
		.amdhsa_float_denorm_mode_32 3
		.amdhsa_float_denorm_mode_16_64 3
		.amdhsa_dx10_clamp 1
		.amdhsa_ieee_mode 1
		.amdhsa_fp16_overflow 0
		.amdhsa_tg_split 0
		.amdhsa_exception_fp_ieee_invalid_op 0
		.amdhsa_exception_fp_denorm_src 0
		.amdhsa_exception_fp_ieee_div_zero 0
		.amdhsa_exception_fp_ieee_overflow 0
		.amdhsa_exception_fp_ieee_underflow 0
		.amdhsa_exception_fp_ieee_inexact 0
		.amdhsa_exception_int_div_zero 0
	.end_amdhsa_kernel
	.section	.text._ZN2at6native12cross_kernelIf16OffsetCalculatorILi3EjLb0EElEEviPT_PKS4_S7_T0_T1_S9_S9_,"axG",@progbits,_ZN2at6native12cross_kernelIf16OffsetCalculatorILi3EjLb0EElEEviPT_PKS4_S7_T0_T1_S9_S9_,comdat
.Lfunc_end12:
	.size	_ZN2at6native12cross_kernelIf16OffsetCalculatorILi3EjLb0EElEEviPT_PKS4_S7_T0_T1_S9_S9_, .Lfunc_end12-_ZN2at6native12cross_kernelIf16OffsetCalculatorILi3EjLb0EElEEviPT_PKS4_S7_T0_T1_S9_S9_
                                        ; -- End function
	.section	.AMDGPU.csdata,"",@progbits
; Kernel info:
; codeLenInByte = 1012
; NumSgprs: 62
; NumVgprs: 26
; NumAgprs: 0
; TotalNumVgprs: 26
; ScratchSize: 0
; MemoryBound: 0
; FloatMode: 240
; IeeeMode: 1
; LDSByteSize: 0 bytes/workgroup (compile time only)
; SGPRBlocks: 7
; VGPRBlocks: 3
; NumSGPRsForWavesPerEU: 62
; NumVGPRsForWavesPerEU: 26
; AccumOffset: 28
; Occupancy: 8
; WaveLimiterHint : 1
; COMPUTE_PGM_RSRC2:SCRATCH_EN: 0
; COMPUTE_PGM_RSRC2:USER_SGPR: 6
; COMPUTE_PGM_RSRC2:TRAP_HANDLER: 0
; COMPUTE_PGM_RSRC2:TGID_X_EN: 1
; COMPUTE_PGM_RSRC2:TGID_Y_EN: 0
; COMPUTE_PGM_RSRC2:TGID_Z_EN: 0
; COMPUTE_PGM_RSRC2:TIDIG_COMP_CNT: 0
; COMPUTE_PGM_RSRC3_GFX90A:ACCUM_OFFSET: 6
; COMPUTE_PGM_RSRC3_GFX90A:TG_SPLIT: 0
	.section	.text._ZN2at6native12cross_kernelIf16OffsetCalculatorILi3EjLb0EEiEEviPT_PKS4_S7_T0_T1_S9_S9_,"axG",@progbits,_ZN2at6native12cross_kernelIf16OffsetCalculatorILi3EjLb0EEiEEviPT_PKS4_S7_T0_T1_S9_S9_,comdat
	.protected	_ZN2at6native12cross_kernelIf16OffsetCalculatorILi3EjLb0EEiEEviPT_PKS4_S7_T0_T1_S9_S9_ ; -- Begin function _ZN2at6native12cross_kernelIf16OffsetCalculatorILi3EjLb0EEiEEviPT_PKS4_S7_T0_T1_S9_S9_
	.globl	_ZN2at6native12cross_kernelIf16OffsetCalculatorILi3EjLb0EEiEEviPT_PKS4_S7_T0_T1_S9_S9_
	.p2align	8
	.type	_ZN2at6native12cross_kernelIf16OffsetCalculatorILi3EjLb0EEiEEviPT_PKS4_S7_T0_T1_S9_S9_,@function
_ZN2at6native12cross_kernelIf16OffsetCalculatorILi3EjLb0EEiEEviPT_PKS4_S7_T0_T1_S9_S9_: ; @_ZN2at6native12cross_kernelIf16OffsetCalculatorILi3EjLb0EEiEEviPT_PKS4_S7_T0_T1_S9_S9_
; %bb.0:
	s_load_dword s24, s[4:5], 0x0
	s_load_dword s0, s[4:5], 0x1bc
	v_mov_b32_e32 v1, 0
	v_mov_b32_e32 v2, s6
	s_waitcnt lgkmcnt(0)
	s_ashr_i32 s25, s24, 31
	s_add_u32 s20, s4, 0x1b0
	s_addc_u32 s21, s5, 0
	s_and_b32 s33, s0, 0xffff
	v_mad_u64_u32 v[2:3], s[0:1], s33, v2, v[0:1]
	v_cmp_gt_i64_e32 vcc, s[24:25], v[2:3]
	s_and_saveexec_b64 s[0:1], vcc
	s_cbranch_execz .LBB13_13
; %bb.1:
	s_load_dwordx8 s[8:15], s[4:5], 0x20
	s_load_dwordx4 s[16:19], s[4:5], 0x8
	s_load_dwordx2 s[6:7], s[4:5], 0x18
	s_load_dwordx4 s[0:3], s[4:5], 0x1a4
	s_waitcnt lgkmcnt(0)
	s_load_dword s3, s[20:21], 0x0
	s_add_i32 s15, s8, -1
                                        ; kill: killed $sgpr20 killed $sgpr21
	s_cmp_gt_u32 s15, 1
	s_load_dwordx4 s[20:23], s[4:5], 0xe4
	s_load_dwordx2 s[30:31], s[4:5], 0xf4
	s_cselect_b64 s[26:27], -1, 0
	s_cmp_lg_u32 s8, 0
	s_cselect_b64 s[28:29], -1, 0
	s_min_u32 s36, s15, 15
	s_cmp_gt_u32 s8, 1
	s_cselect_b64 s[34:35], -1, 0
	s_mov_b32 s8, s13
	s_lshl_b32 s42, s2, 1
	s_waitcnt lgkmcnt(0)
	s_mul_i32 s13, s3, s33
	s_add_i32 s3, s36, 1
	s_mov_b32 s15, s21
	s_mov_b32 s21, s22
	s_ashr_i32 s39, s1, 31
	s_mov_b32 s38, s1
	s_ashr_i32 s43, s42, 31
	s_ashr_i32 s1, s0, 31
	s_and_b32 s22, s3, 30
	s_bitcmp0_b32 s36, 0
	s_cselect_b64 s[36:37], -1, 0
	s_ashr_i32 s3, s2, 31
	s_lshl_b64 s[38:39], s[38:39], 2
	s_lshl_b64 s[40:41], s[2:3], 2
	s_sub_u32 s33, 0, s40
	s_subb_u32 s45, 0, s41
	s_lshl_b64 s[40:41], s[0:1], 2
	s_add_u32 s4, s4, 12
	s_mov_b32 s44, 0
	s_addc_u32 s5, s5, 0
	s_lshl_b64 s[42:43], s[42:43], 2
	s_mov_b64 s[2:3], 0
	v_mov_b32_e32 v8, s17
	v_mov_b32_e32 v9, s19
	;; [unrolled: 1-line block ×8, first 2 shown]
	s_branch .LBB13_3
.LBB13_2:                               ;   in Loop: Header=BB13_3 Depth=1
	v_mov_b32_e32 v7, v1
	v_lshlrev_b64 v[6:7], 2, v[6:7]
	v_add_co_u32_e32 v6, vcc, s18, v6
	v_mov_b32_e32 v5, v1
	v_addc_co_u32_e32 v7, vcc, v9, v7, vcc
	v_lshlrev_b64 v[4:5], 2, v[4:5]
	v_add_co_u32_e32 v4, vcc, s6, v4
	v_addc_co_u32_e32 v5, vcc, v10, v5, vcc
	v_add_co_u32_e32 v16, vcc, s38, v6
	v_addc_co_u32_e32 v17, vcc, v7, v11, vcc
	;; [unrolled: 2-line block ×3, first 2 shown]
	global_load_dword v20, v[16:17], off
	v_add_co_u32_e32 v16, vcc, s38, v16
	v_addc_co_u32_e32 v17, vcc, v17, v11, vcc
	global_load_dword v22, v[16:17], off
	v_add_co_u32_e32 v16, vcc, s33, v18
	global_load_dword v21, v[18:19], off
	v_addc_co_u32_e32 v17, vcc, v19, v13, vcc
	global_load_dword v18, v[6:7], off
	global_load_dword v19, v[4:5], off
	;; [unrolled: 1-line block ×3, first 2 shown]
	v_add_co_u32_e32 v2, vcc, s13, v2
	v_lshlrev_b64 v[4:5], 2, v[0:1]
	v_addc_co_u32_e32 v3, vcc, v3, v15, vcc
	v_add_co_u32_e32 v4, vcc, s16, v4
	v_addc_co_u32_e32 v5, vcc, v8, v5, vcc
	v_cmp_le_i64_e32 vcc, s[24:25], v[2:3]
	v_add_co_u32_e64 v6, s[0:1], s40, v4
	v_addc_co_u32_e64 v7, s[0:1], v5, v14, s[0:1]
	s_or_b64 s[2:3], vcc, s[2:3]
	v_add_co_u32_e32 v16, vcc, s40, v6
	v_addc_co_u32_e32 v17, vcc, v7, v14, vcc
	s_waitcnt vmcnt(2)
	v_mul_f32_e32 v0, v21, v18
	s_waitcnt vmcnt(1)
	v_mul_f32_e32 v24, v20, v19
	;; [unrolled: 2-line block ×3, first 2 shown]
	v_fma_f32 v0, v22, v19, -v0
	v_fma_f32 v19, v20, v21, -v25
	;; [unrolled: 1-line block ×3, first 2 shown]
	global_store_dword v[4:5], v19, off
	global_store_dword v[6:7], v0, off
	;; [unrolled: 1-line block ×3, first 2 shown]
	s_andn2_b64 exec, exec, s[2:3]
	s_cbranch_execz .LBB13_13
.LBB13_3:                               ; =>This Loop Header: Depth=1
                                        ;     Child Loop BB13_6 Depth 2
	s_andn2_b64 vcc, exec, s[26:27]
	s_cbranch_vccnz .LBB13_10
; %bb.4:                                ;   in Loop: Header=BB13_3 Depth=1
	s_andn2_b64 vcc, exec, s[28:29]
	v_mov_b32_e32 v4, 0
	v_mov_b32_e32 v6, 0
	;; [unrolled: 1-line block ×3, first 2 shown]
	s_cbranch_vccnz .LBB13_9
; %bb.5:                                ;   in Loop: Header=BB13_3 Depth=1
	v_mov_b32_e32 v0, 0
	s_mov_b32 s7, s22
	s_mov_b64 s[0:1], s[4:5]
	v_mov_b32_e32 v5, v2
	v_mov_b32_e32 v6, v0
	;; [unrolled: 1-line block ×3, first 2 shown]
.LBB13_6:                               ;   Parent Loop BB13_3 Depth=1
                                        ; =>  This Inner Loop Header: Depth=2
	s_mov_b64 s[52:53], s[0:1]
	s_load_dwordx4 s[44:47], s[52:53], 0x18
	s_load_dwordx2 s[54:55], s[52:53], 0x28
	s_load_dwordx2 s[56:57], s[52:53], 0xe8
	s_load_dwordx4 s[48:51], s[52:53], 0xd8
	s_add_u32 s0, s52, 24
	s_waitcnt lgkmcnt(0)
	v_mul_hi_u32 v7, s45, v5
	v_add_u32_e32 v7, v5, v7
	v_lshrrev_b32_e32 v7, s46, v7
	v_mul_lo_u32 v16, v7, s44
	v_mul_hi_u32 v17, s54, v7
	v_sub_u32_e32 v5, v5, v16
	v_add_u32_e32 v16, v7, v17
	v_mul_lo_u32 v17, v5, s48
	v_mul_lo_u32 v18, v5, s49
	;; [unrolled: 1-line block ×3, first 2 shown]
	v_lshrrev_b32_e32 v5, s55, v16
	v_mul_lo_u32 v16, v5, s47
	v_sub_u32_e32 v7, v7, v16
	s_addc_u32 s1, s53, 0
	s_add_i32 s7, s7, -2
	v_mul_lo_u32 v16, v7, s51
	v_mul_lo_u32 v20, v7, s56
	v_mul_lo_u32 v7, v7, s57
	s_cmp_lg_u32 s7, 0
	v_add3_u32 v0, v17, v0, v16
	v_add3_u32 v4, v19, v4, v7
	;; [unrolled: 1-line block ×3, first 2 shown]
	s_cbranch_scc1 .LBB13_6
; %bb.7:                                ;   in Loop: Header=BB13_3 Depth=1
	s_andn2_b64 vcc, exec, s[36:37]
	s_cbranch_vccnz .LBB13_9
; %bb.8:                                ;   in Loop: Header=BB13_3 Depth=1
	s_load_dwordx2 s[44:45], s[0:1], 0x18
	s_load_dword s7, s[0:1], 0x20
	s_load_dword s17, s[0:1], 0xe0
	s_load_dwordx2 s[46:47], s[0:1], 0xd8
	s_waitcnt lgkmcnt(0)
	v_mul_hi_u32 v7, s45, v5
	v_add_u32_e32 v7, v5, v7
	v_lshrrev_b32_e32 v7, s7, v7
	v_mul_lo_u32 v7, v7, s44
	v_sub_u32_e32 v5, v5, v7
	v_mad_u64_u32 v[16:17], s[0:1], v5, s46, v[0:1]
	v_mad_u64_u32 v[6:7], s[0:1], v5, s47, v[6:7]
	;; [unrolled: 1-line block ×3, first 2 shown]
	v_mov_b32_e32 v0, v16
.LBB13_9:                               ;   in Loop: Header=BB13_3 Depth=1
	s_cbranch_execnz .LBB13_2
	s_branch .LBB13_11
.LBB13_10:                              ;   in Loop: Header=BB13_3 Depth=1
                                        ; implicit-def: $vgpr4
                                        ; implicit-def: $vgpr6
.LBB13_11:                              ;   in Loop: Header=BB13_3 Depth=1
	v_mul_hi_u32 v0, v2, s10
	v_add_u32_e32 v0, v0, v2
	v_lshrrev_b32_e32 v5, s11, v0
	v_mul_lo_u32 v0, v5, s9
	v_sub_u32_e32 v6, v2, v0
	v_mul_lo_u32 v0, v6, s20
	v_mul_lo_u32 v4, v6, s21
	s_andn2_b64 vcc, exec, s[34:35]
	v_mul_lo_u32 v6, v6, s15
	s_cbranch_vccnz .LBB13_2
; %bb.12:                               ;   in Loop: Header=BB13_3 Depth=1
	v_mul_hi_u32 v7, s8, v5
	v_add_u32_e32 v7, v5, v7
	v_lshrrev_b32_e32 v7, s14, v7
	v_mul_lo_u32 v7, v7, s12
	v_sub_u32_e32 v5, v5, v7
	v_mad_u64_u32 v[16:17], s[0:1], v5, s23, v[0:1]
	v_mad_u64_u32 v[6:7], s[0:1], v5, s30, v[6:7]
	;; [unrolled: 1-line block ×3, first 2 shown]
	v_mov_b32_e32 v0, v16
	s_branch .LBB13_2
.LBB13_13:
	s_endpgm
	.section	.rodata,"a",@progbits
	.p2align	6, 0x0
	.amdhsa_kernel _ZN2at6native12cross_kernelIf16OffsetCalculatorILi3EjLb0EEiEEviPT_PKS4_S7_T0_T1_S9_S9_
		.amdhsa_group_segment_fixed_size 0
		.amdhsa_private_segment_fixed_size 0
		.amdhsa_kernarg_size 688
		.amdhsa_user_sgpr_count 6
		.amdhsa_user_sgpr_private_segment_buffer 1
		.amdhsa_user_sgpr_dispatch_ptr 0
		.amdhsa_user_sgpr_queue_ptr 0
		.amdhsa_user_sgpr_kernarg_segment_ptr 1
		.amdhsa_user_sgpr_dispatch_id 0
		.amdhsa_user_sgpr_flat_scratch_init 0
		.amdhsa_user_sgpr_kernarg_preload_length 0
		.amdhsa_user_sgpr_kernarg_preload_offset 0
		.amdhsa_user_sgpr_private_segment_size 0
		.amdhsa_uses_dynamic_stack 0
		.amdhsa_system_sgpr_private_segment_wavefront_offset 0
		.amdhsa_system_sgpr_workgroup_id_x 1
		.amdhsa_system_sgpr_workgroup_id_y 0
		.amdhsa_system_sgpr_workgroup_id_z 0
		.amdhsa_system_sgpr_workgroup_info 0
		.amdhsa_system_vgpr_workitem_id 0
		.amdhsa_next_free_vgpr 26
		.amdhsa_next_free_sgpr 58
		.amdhsa_accum_offset 28
		.amdhsa_reserve_vcc 1
		.amdhsa_reserve_flat_scratch 0
		.amdhsa_float_round_mode_32 0
		.amdhsa_float_round_mode_16_64 0
		.amdhsa_float_denorm_mode_32 3
		.amdhsa_float_denorm_mode_16_64 3
		.amdhsa_dx10_clamp 1
		.amdhsa_ieee_mode 1
		.amdhsa_fp16_overflow 0
		.amdhsa_tg_split 0
		.amdhsa_exception_fp_ieee_invalid_op 0
		.amdhsa_exception_fp_denorm_src 0
		.amdhsa_exception_fp_ieee_div_zero 0
		.amdhsa_exception_fp_ieee_overflow 0
		.amdhsa_exception_fp_ieee_underflow 0
		.amdhsa_exception_fp_ieee_inexact 0
		.amdhsa_exception_int_div_zero 0
	.end_amdhsa_kernel
	.section	.text._ZN2at6native12cross_kernelIf16OffsetCalculatorILi3EjLb0EEiEEviPT_PKS4_S7_T0_T1_S9_S9_,"axG",@progbits,_ZN2at6native12cross_kernelIf16OffsetCalculatorILi3EjLb0EEiEEviPT_PKS4_S7_T0_T1_S9_S9_,comdat
.Lfunc_end13:
	.size	_ZN2at6native12cross_kernelIf16OffsetCalculatorILi3EjLb0EEiEEviPT_PKS4_S7_T0_T1_S9_S9_, .Lfunc_end13-_ZN2at6native12cross_kernelIf16OffsetCalculatorILi3EjLb0EEiEEviPT_PKS4_S7_T0_T1_S9_S9_
                                        ; -- End function
	.section	.AMDGPU.csdata,"",@progbits
; Kernel info:
; codeLenInByte = 1028
; NumSgprs: 62
; NumVgprs: 26
; NumAgprs: 0
; TotalNumVgprs: 26
; ScratchSize: 0
; MemoryBound: 0
; FloatMode: 240
; IeeeMode: 1
; LDSByteSize: 0 bytes/workgroup (compile time only)
; SGPRBlocks: 7
; VGPRBlocks: 3
; NumSGPRsForWavesPerEU: 62
; NumVGPRsForWavesPerEU: 26
; AccumOffset: 28
; Occupancy: 8
; WaveLimiterHint : 1
; COMPUTE_PGM_RSRC2:SCRATCH_EN: 0
; COMPUTE_PGM_RSRC2:USER_SGPR: 6
; COMPUTE_PGM_RSRC2:TRAP_HANDLER: 0
; COMPUTE_PGM_RSRC2:TGID_X_EN: 1
; COMPUTE_PGM_RSRC2:TGID_Y_EN: 0
; COMPUTE_PGM_RSRC2:TGID_Z_EN: 0
; COMPUTE_PGM_RSRC2:TIDIG_COMP_CNT: 0
; COMPUTE_PGM_RSRC3_GFX90A:ACCUM_OFFSET: 6
; COMPUTE_PGM_RSRC3_GFX90A:TG_SPLIT: 0
	.section	.text._ZN2at6native12cross_kernelIN3c107complexIdEE16OffsetCalculatorILi3EjLb0EElEEviPT_PKS7_SA_T0_T1_SC_SC_,"axG",@progbits,_ZN2at6native12cross_kernelIN3c107complexIdEE16OffsetCalculatorILi3EjLb0EElEEviPT_PKS7_SA_T0_T1_SC_SC_,comdat
	.protected	_ZN2at6native12cross_kernelIN3c107complexIdEE16OffsetCalculatorILi3EjLb0EElEEviPT_PKS7_SA_T0_T1_SC_SC_ ; -- Begin function _ZN2at6native12cross_kernelIN3c107complexIdEE16OffsetCalculatorILi3EjLb0EElEEviPT_PKS7_SA_T0_T1_SC_SC_
	.globl	_ZN2at6native12cross_kernelIN3c107complexIdEE16OffsetCalculatorILi3EjLb0EElEEviPT_PKS7_SA_T0_T1_SC_SC_
	.p2align	8
	.type	_ZN2at6native12cross_kernelIN3c107complexIdEE16OffsetCalculatorILi3EjLb0EElEEviPT_PKS7_SA_T0_T1_SC_SC_,@function
_ZN2at6native12cross_kernelIN3c107complexIdEE16OffsetCalculatorILi3EjLb0EElEEviPT_PKS7_SA_T0_T1_SC_SC_: ; @_ZN2at6native12cross_kernelIN3c107complexIdEE16OffsetCalculatorILi3EjLb0EElEEviPT_PKS7_SA_T0_T1_SC_SC_
; %bb.0:
	s_load_dword s24, s[4:5], 0x0
	s_load_dword s0, s[4:5], 0x1cc
	v_mov_b32_e32 v1, 0
	v_mov_b32_e32 v2, s6
	s_waitcnt lgkmcnt(0)
	s_ashr_i32 s25, s24, 31
	s_add_u32 s20, s4, 0x1c0
	s_addc_u32 s21, s5, 0
	s_and_b32 s33, s0, 0xffff
	v_mad_u64_u32 v[10:11], s[0:1], s33, v2, v[0:1]
	v_cmp_gt_i64_e32 vcc, s[24:25], v[10:11]
	s_and_saveexec_b64 s[0:1], vcc
	s_cbranch_execz .LBB14_13
; %bb.1:
	s_load_dwordx8 s[8:15], s[4:5], 0x20
	s_load_dwordx4 s[16:19], s[4:5], 0x8
	s_load_dwordx2 s[6:7], s[4:5], 0x18
	s_load_dwordx2 s[40:41], s[4:5], 0x1b8
	s_load_dwordx4 s[0:3], s[4:5], 0x1a8
	s_load_dword s38, s[20:21], 0x0
	s_waitcnt lgkmcnt(0)
	s_add_i32 s15, s8, -1
	s_load_dwordx4 s[20:23], s[4:5], 0xe4
	s_load_dwordx2 s[30:31], s[4:5], 0xf4
	s_cmp_gt_u32 s15, 1
	s_cselect_b64 s[26:27], -1, 0
	s_cmp_lg_u32 s8, 0
	s_cselect_b64 s[28:29], -1, 0
	s_min_u32 s39, s15, 15
	s_cmp_gt_u32 s8, 1
	s_waitcnt lgkmcnt(0)
	s_mov_b32 s15, s21
	s_mov_b32 s21, s22
	s_cselect_b64 s[34:35], -1, 0
	s_add_i32 s22, s39, 1
	s_lshl_b64 s[36:37], s[40:41], 5
	s_and_b32 s22, s22, 30
	s_bitcmp0_b32 s39, 0
	s_mov_b32 s8, s13
	s_mul_i32 s13, s38, s33
	s_cselect_b64 s[38:39], -1, 0
	s_lshl_b64 s[2:3], s[2:3], 4
	s_lshl_b64 s[42:43], s[40:41], 4
	s_sub_u32 s33, 0, s42
	s_subb_u32 s45, 0, s43
	s_lshl_b64 s[42:43], s[0:1], 4
	s_mov_b32 s44, 0
	s_add_u32 s4, s4, 12
	s_mov_b64 s[40:41], 0
	s_addc_u32 s5, s5, 0
	v_mov_b32_e32 v12, s17
	v_mov_b32_e32 v13, s19
	;; [unrolled: 1-line block ×8, first 2 shown]
	s_branch .LBB14_3
.LBB14_2:                               ;   in Loop: Header=BB14_3 Depth=1
	v_mov_b32_e32 v5, v1
	v_lshlrev_b64 v[4:5], 4, v[4:5]
	v_add_co_u32_e32 v20, vcc, s18, v4
	v_mov_b32_e32 v3, v1
	v_addc_co_u32_e32 v21, vcc, v13, v5, vcc
	v_lshlrev_b64 v[2:3], 4, v[2:3]
	v_add_co_u32_e32 v24, vcc, s6, v2
	v_addc_co_u32_e32 v25, vcc, v14, v3, vcc
	v_add_co_u32_e32 v26, vcc, s2, v20
	v_addc_co_u32_e32 v27, vcc, v21, v15, vcc
	;; [unrolled: 2-line block ×4, first 2 shown]
	v_add_co_u32_e32 v38, vcc, s33, v28
	global_load_dwordx4 v[2:5], v[28:29], off
	global_load_dwordx4 v[6:9], v[26:27], off
	v_addc_co_u32_e32 v39, vcc, v29, v17, vcc
	global_load_dwordx4 v[20:23], v[20:21], off
	v_add_co_u32_e32 v10, vcc, s13, v10
	global_load_dwordx4 v[24:27], v[24:25], off
	s_nop 0
	global_load_dwordx4 v[28:31], v[38:39], off
	global_load_dwordx4 v[32:35], v[36:37], off
	v_lshlrev_b64 v[36:37], 4, v[0:1]
	v_addc_co_u32_e32 v11, vcc, v11, v19, vcc
	v_add_co_u32_e32 v36, vcc, s16, v36
	v_addc_co_u32_e32 v37, vcc, v12, v37, vcc
	v_cmp_le_i64_e32 vcc, s[24:25], v[10:11]
	v_add_co_u32_e64 v38, s[0:1], s42, v36
	v_addc_co_u32_e64 v39, s[0:1], v37, v18, s[0:1]
	s_or_b64 s[40:41], vcc, s[40:41]
	v_add_co_u32_e32 v40, vcc, s42, v38
	v_addc_co_u32_e32 v41, vcc, v39, v18, vcc
	s_waitcnt vmcnt(4)
	v_mul_f64 v[44:45], v[2:3], v[8:9]
	v_mul_f64 v[42:43], v[4:5], v[8:9]
	v_fmac_f64_e32 v[44:45], v[4:5], v[6:7]
	s_waitcnt vmcnt(3)
	v_mul_f64 v[48:49], v[2:3], v[22:23]
	v_mul_f64 v[46:47], v[4:5], v[22:23]
	v_fmac_f64_e32 v[48:49], v[4:5], v[20:21]
	s_waitcnt vmcnt(2)
	v_mul_f64 v[50:51], v[8:9], v[26:27]
	v_mul_f64 v[52:53], v[6:7], v[26:27]
	s_waitcnt vmcnt(0)
	v_mul_f64 v[4:5], v[34:35], v[26:27]
	v_fma_f64 v[42:43], v[2:3], v[6:7], -v[42:43]
	v_fma_f64 v[46:47], v[2:3], v[20:21], -v[46:47]
	v_mul_f64 v[2:3], v[30:31], v[34:35]
	v_fma_f64 v[50:51], v[6:7], v[24:25], -v[50:51]
	v_fmac_f64_e32 v[52:53], v[8:9], v[24:25]
	v_mul_f64 v[8:9], v[32:33], v[26:27]
	v_fma_f64 v[6:7], v[32:33], v[24:25], -v[4:5]
	v_mul_f64 v[4:5], v[28:29], v[34:35]
	v_fmac_f64_e32 v[8:9], v[34:35], v[24:25]
	v_mul_f64 v[24:25], v[30:31], v[22:23]
	v_fma_f64 v[2:3], v[28:29], v[32:33], -v[2:3]
	v_fmac_f64_e32 v[4:5], v[30:31], v[32:33]
	v_mul_f64 v[22:23], v[28:29], v[22:23]
	v_fma_f64 v[24:25], v[28:29], v[20:21], -v[24:25]
	v_fmac_f64_e32 v[22:23], v[30:31], v[20:21]
	v_add_f64 v[2:3], v[42:43], -v[2:3]
	v_add_f64 v[4:5], v[44:45], -v[4:5]
	;; [unrolled: 1-line block ×6, first 2 shown]
	global_store_dwordx4 v[36:37], v[2:5], off
	global_store_dwordx4 v[38:39], v[6:9], off
	;; [unrolled: 1-line block ×3, first 2 shown]
	s_andn2_b64 exec, exec, s[40:41]
	s_cbranch_execz .LBB14_13
.LBB14_3:                               ; =>This Loop Header: Depth=1
                                        ;     Child Loop BB14_6 Depth 2
	s_andn2_b64 vcc, exec, s[26:27]
	s_cbranch_vccnz .LBB14_10
; %bb.4:                                ;   in Loop: Header=BB14_3 Depth=1
	s_andn2_b64 vcc, exec, s[28:29]
	v_mov_b32_e32 v2, 0
	v_mov_b32_e32 v4, 0
	;; [unrolled: 1-line block ×3, first 2 shown]
	s_cbranch_vccnz .LBB14_9
; %bb.5:                                ;   in Loop: Header=BB14_3 Depth=1
	v_mov_b32_e32 v0, 0
	s_mov_b32 s3, s22
	s_mov_b64 s[0:1], s[4:5]
	v_mov_b32_e32 v3, v10
	v_mov_b32_e32 v4, v0
	;; [unrolled: 1-line block ×3, first 2 shown]
.LBB14_6:                               ;   Parent Loop BB14_3 Depth=1
                                        ; =>  This Inner Loop Header: Depth=2
	s_mov_b64 s[52:53], s[0:1]
	s_load_dwordx4 s[44:47], s[52:53], 0x18
	s_load_dwordx2 s[54:55], s[52:53], 0x28
	s_load_dwordx2 s[56:57], s[52:53], 0xe8
	s_load_dwordx4 s[48:51], s[52:53], 0xd8
	s_add_u32 s0, s52, 24
	s_waitcnt lgkmcnt(0)
	v_mul_hi_u32 v5, s45, v3
	v_add_u32_e32 v5, v3, v5
	v_lshrrev_b32_e32 v5, s46, v5
	v_mul_lo_u32 v6, v5, s44
	v_mul_hi_u32 v7, s54, v5
	v_sub_u32_e32 v3, v3, v6
	v_add_u32_e32 v6, v5, v7
	v_mul_lo_u32 v7, v3, s48
	v_mul_lo_u32 v8, v3, s49
	;; [unrolled: 1-line block ×3, first 2 shown]
	v_lshrrev_b32_e32 v3, s55, v6
	v_mul_lo_u32 v6, v3, s47
	v_sub_u32_e32 v5, v5, v6
	s_addc_u32 s1, s53, 0
	s_add_i32 s3, s3, -2
	v_mul_lo_u32 v6, v5, s51
	v_mul_lo_u32 v20, v5, s56
	;; [unrolled: 1-line block ×3, first 2 shown]
	s_cmp_lg_u32 s3, 0
	v_add3_u32 v0, v7, v0, v6
	v_add3_u32 v2, v9, v2, v5
	v_add3_u32 v4, v8, v4, v20
	s_cbranch_scc1 .LBB14_6
; %bb.7:                                ;   in Loop: Header=BB14_3 Depth=1
	s_andn2_b64 vcc, exec, s[38:39]
	s_cbranch_vccnz .LBB14_9
; %bb.8:                                ;   in Loop: Header=BB14_3 Depth=1
	s_load_dwordx2 s[44:45], s[0:1], 0x18
	s_load_dword s3, s[0:1], 0x20
	s_load_dword s7, s[0:1], 0xe0
	s_load_dwordx2 s[46:47], s[0:1], 0xd8
	s_waitcnt lgkmcnt(0)
	v_mul_hi_u32 v5, s45, v3
	v_add_u32_e32 v5, v3, v5
	v_lshrrev_b32_e32 v5, s3, v5
	v_mul_lo_u32 v5, v5, s44
	v_sub_u32_e32 v3, v3, v5
	v_mad_u64_u32 v[6:7], s[0:1], v3, s46, v[0:1]
	v_mad_u64_u32 v[4:5], s[0:1], v3, s47, v[4:5]
	;; [unrolled: 1-line block ×3, first 2 shown]
	v_mov_b32_e32 v0, v6
.LBB14_9:                               ;   in Loop: Header=BB14_3 Depth=1
	s_cbranch_execnz .LBB14_2
	s_branch .LBB14_11
.LBB14_10:                              ;   in Loop: Header=BB14_3 Depth=1
                                        ; implicit-def: $vgpr2
                                        ; implicit-def: $vgpr4
.LBB14_11:                              ;   in Loop: Header=BB14_3 Depth=1
	v_mul_hi_u32 v0, v10, s10
	v_add_u32_e32 v0, v0, v10
	v_lshrrev_b32_e32 v3, s11, v0
	v_mul_lo_u32 v0, v3, s9
	v_sub_u32_e32 v4, v10, v0
	v_mul_lo_u32 v0, v4, s20
	v_mul_lo_u32 v2, v4, s21
	s_andn2_b64 vcc, exec, s[34:35]
	v_mul_lo_u32 v4, v4, s15
	s_cbranch_vccnz .LBB14_2
; %bb.12:                               ;   in Loop: Header=BB14_3 Depth=1
	v_mul_hi_u32 v5, s8, v3
	v_add_u32_e32 v5, v3, v5
	v_lshrrev_b32_e32 v5, s14, v5
	v_mul_lo_u32 v5, v5, s12
	v_sub_u32_e32 v3, v3, v5
	v_mad_u64_u32 v[6:7], s[0:1], v3, s23, v[0:1]
	v_mad_u64_u32 v[4:5], s[0:1], v3, s30, v[4:5]
	;; [unrolled: 1-line block ×3, first 2 shown]
	v_mov_b32_e32 v0, v6
	s_branch .LBB14_2
.LBB14_13:
	s_endpgm
	.section	.rodata,"a",@progbits
	.p2align	6, 0x0
	.amdhsa_kernel _ZN2at6native12cross_kernelIN3c107complexIdEE16OffsetCalculatorILi3EjLb0EElEEviPT_PKS7_SA_T0_T1_SC_SC_
		.amdhsa_group_segment_fixed_size 0
		.amdhsa_private_segment_fixed_size 0
		.amdhsa_kernarg_size 704
		.amdhsa_user_sgpr_count 6
		.amdhsa_user_sgpr_private_segment_buffer 1
		.amdhsa_user_sgpr_dispatch_ptr 0
		.amdhsa_user_sgpr_queue_ptr 0
		.amdhsa_user_sgpr_kernarg_segment_ptr 1
		.amdhsa_user_sgpr_dispatch_id 0
		.amdhsa_user_sgpr_flat_scratch_init 0
		.amdhsa_user_sgpr_kernarg_preload_length 0
		.amdhsa_user_sgpr_kernarg_preload_offset 0
		.amdhsa_user_sgpr_private_segment_size 0
		.amdhsa_uses_dynamic_stack 0
		.amdhsa_system_sgpr_private_segment_wavefront_offset 0
		.amdhsa_system_sgpr_workgroup_id_x 1
		.amdhsa_system_sgpr_workgroup_id_y 0
		.amdhsa_system_sgpr_workgroup_id_z 0
		.amdhsa_system_sgpr_workgroup_info 0
		.amdhsa_system_vgpr_workitem_id 0
		.amdhsa_next_free_vgpr 54
		.amdhsa_next_free_sgpr 58
		.amdhsa_accum_offset 56
		.amdhsa_reserve_vcc 1
		.amdhsa_reserve_flat_scratch 0
		.amdhsa_float_round_mode_32 0
		.amdhsa_float_round_mode_16_64 0
		.amdhsa_float_denorm_mode_32 3
		.amdhsa_float_denorm_mode_16_64 3
		.amdhsa_dx10_clamp 1
		.amdhsa_ieee_mode 1
		.amdhsa_fp16_overflow 0
		.amdhsa_tg_split 0
		.amdhsa_exception_fp_ieee_invalid_op 0
		.amdhsa_exception_fp_denorm_src 0
		.amdhsa_exception_fp_ieee_div_zero 0
		.amdhsa_exception_fp_ieee_overflow 0
		.amdhsa_exception_fp_ieee_underflow 0
		.amdhsa_exception_fp_ieee_inexact 0
		.amdhsa_exception_int_div_zero 0
	.end_amdhsa_kernel
	.section	.text._ZN2at6native12cross_kernelIN3c107complexIdEE16OffsetCalculatorILi3EjLb0EElEEviPT_PKS7_SA_T0_T1_SC_SC_,"axG",@progbits,_ZN2at6native12cross_kernelIN3c107complexIdEE16OffsetCalculatorILi3EjLb0EElEEviPT_PKS7_SA_T0_T1_SC_SC_,comdat
.Lfunc_end14:
	.size	_ZN2at6native12cross_kernelIN3c107complexIdEE16OffsetCalculatorILi3EjLb0EElEEviPT_PKS7_SA_T0_T1_SC_SC_, .Lfunc_end14-_ZN2at6native12cross_kernelIN3c107complexIdEE16OffsetCalculatorILi3EjLb0EElEEviPT_PKS7_SA_T0_T1_SC_SC_
                                        ; -- End function
	.section	.AMDGPU.csdata,"",@progbits
; Kernel info:
; codeLenInByte = 1200
; NumSgprs: 62
; NumVgprs: 54
; NumAgprs: 0
; TotalNumVgprs: 54
; ScratchSize: 0
; MemoryBound: 0
; FloatMode: 240
; IeeeMode: 1
; LDSByteSize: 0 bytes/workgroup (compile time only)
; SGPRBlocks: 7
; VGPRBlocks: 6
; NumSGPRsForWavesPerEU: 62
; NumVGPRsForWavesPerEU: 54
; AccumOffset: 56
; Occupancy: 8
; WaveLimiterHint : 1
; COMPUTE_PGM_RSRC2:SCRATCH_EN: 0
; COMPUTE_PGM_RSRC2:USER_SGPR: 6
; COMPUTE_PGM_RSRC2:TRAP_HANDLER: 0
; COMPUTE_PGM_RSRC2:TGID_X_EN: 1
; COMPUTE_PGM_RSRC2:TGID_Y_EN: 0
; COMPUTE_PGM_RSRC2:TGID_Z_EN: 0
; COMPUTE_PGM_RSRC2:TIDIG_COMP_CNT: 0
; COMPUTE_PGM_RSRC3_GFX90A:ACCUM_OFFSET: 13
; COMPUTE_PGM_RSRC3_GFX90A:TG_SPLIT: 0
	.section	.text._ZN2at6native12cross_kernelIN3c107complexIdEE16OffsetCalculatorILi3EjLb0EEiEEviPT_PKS7_SA_T0_T1_SC_SC_,"axG",@progbits,_ZN2at6native12cross_kernelIN3c107complexIdEE16OffsetCalculatorILi3EjLb0EEiEEviPT_PKS7_SA_T0_T1_SC_SC_,comdat
	.protected	_ZN2at6native12cross_kernelIN3c107complexIdEE16OffsetCalculatorILi3EjLb0EEiEEviPT_PKS7_SA_T0_T1_SC_SC_ ; -- Begin function _ZN2at6native12cross_kernelIN3c107complexIdEE16OffsetCalculatorILi3EjLb0EEiEEviPT_PKS7_SA_T0_T1_SC_SC_
	.globl	_ZN2at6native12cross_kernelIN3c107complexIdEE16OffsetCalculatorILi3EjLb0EEiEEviPT_PKS7_SA_T0_T1_SC_SC_
	.p2align	8
	.type	_ZN2at6native12cross_kernelIN3c107complexIdEE16OffsetCalculatorILi3EjLb0EEiEEviPT_PKS7_SA_T0_T1_SC_SC_,@function
_ZN2at6native12cross_kernelIN3c107complexIdEE16OffsetCalculatorILi3EjLb0EEiEEviPT_PKS7_SA_T0_T1_SC_SC_: ; @_ZN2at6native12cross_kernelIN3c107complexIdEE16OffsetCalculatorILi3EjLb0EEiEEviPT_PKS7_SA_T0_T1_SC_SC_
; %bb.0:
	s_load_dword s24, s[4:5], 0x0
	s_load_dword s0, s[4:5], 0x1bc
	v_mov_b32_e32 v1, 0
	v_mov_b32_e32 v2, s6
	s_waitcnt lgkmcnt(0)
	s_ashr_i32 s25, s24, 31
	s_add_u32 s20, s4, 0x1b0
	s_addc_u32 s21, s5, 0
	s_and_b32 s33, s0, 0xffff
	v_mad_u64_u32 v[10:11], s[0:1], s33, v2, v[0:1]
	v_cmp_gt_i64_e32 vcc, s[24:25], v[10:11]
	s_and_saveexec_b64 s[0:1], vcc
	s_cbranch_execz .LBB15_13
; %bb.1:
	s_load_dwordx8 s[8:15], s[4:5], 0x20
	s_load_dwordx4 s[16:19], s[4:5], 0x8
	s_load_dwordx2 s[6:7], s[4:5], 0x18
	s_load_dwordx4 s[0:3], s[4:5], 0x1a4
	s_waitcnt lgkmcnt(0)
	s_load_dword s3, s[20:21], 0x0
	s_add_i32 s15, s8, -1
                                        ; kill: killed $sgpr20 killed $sgpr21
	s_cmp_gt_u32 s15, 1
	s_load_dwordx4 s[20:23], s[4:5], 0xe4
	s_load_dwordx2 s[30:31], s[4:5], 0xf4
	s_cselect_b64 s[26:27], -1, 0
	s_cmp_lg_u32 s8, 0
	s_cselect_b64 s[28:29], -1, 0
	s_min_u32 s36, s15, 15
	s_cmp_gt_u32 s8, 1
	s_cselect_b64 s[34:35], -1, 0
	s_mov_b32 s8, s13
	s_lshl_b32 s42, s2, 1
	s_waitcnt lgkmcnt(0)
	s_mul_i32 s13, s3, s33
	s_add_i32 s3, s36, 1
	s_mov_b32 s15, s21
	s_mov_b32 s21, s22
	s_ashr_i32 s39, s1, 31
	s_mov_b32 s38, s1
	s_ashr_i32 s43, s42, 31
	s_ashr_i32 s1, s0, 31
	s_and_b32 s22, s3, 30
	s_bitcmp0_b32 s36, 0
	s_cselect_b64 s[36:37], -1, 0
	s_ashr_i32 s3, s2, 31
	s_lshl_b64 s[38:39], s[38:39], 4
	s_lshl_b64 s[40:41], s[2:3], 4
	s_sub_u32 s33, 0, s40
	s_subb_u32 s45, 0, s41
	s_lshl_b64 s[40:41], s[0:1], 4
	s_add_u32 s4, s4, 12
	s_mov_b32 s44, 0
	s_addc_u32 s5, s5, 0
	s_lshl_b64 s[42:43], s[42:43], 4
	s_mov_b64 s[2:3], 0
	v_mov_b32_e32 v12, s17
	v_mov_b32_e32 v13, s19
	v_mov_b32_e32 v14, s7
	v_mov_b32_e32 v15, s39
	v_mov_b32_e32 v16, s43
	v_mov_b32_e32 v17, s45
	v_mov_b32_e32 v18, s41
	v_mov_b32_e32 v19, s44
	s_branch .LBB15_3
.LBB15_2:                               ;   in Loop: Header=BB15_3 Depth=1
	v_mov_b32_e32 v5, v1
	v_lshlrev_b64 v[4:5], 4, v[4:5]
	v_add_co_u32_e32 v20, vcc, s18, v4
	v_mov_b32_e32 v3, v1
	v_addc_co_u32_e32 v21, vcc, v13, v5, vcc
	v_lshlrev_b64 v[2:3], 4, v[2:3]
	v_add_co_u32_e32 v24, vcc, s6, v2
	v_addc_co_u32_e32 v25, vcc, v14, v3, vcc
	v_add_co_u32_e32 v26, vcc, s38, v20
	v_addc_co_u32_e32 v27, vcc, v21, v15, vcc
	;; [unrolled: 2-line block ×4, first 2 shown]
	v_add_co_u32_e32 v38, vcc, s33, v28
	global_load_dwordx4 v[2:5], v[28:29], off
	global_load_dwordx4 v[6:9], v[26:27], off
	v_addc_co_u32_e32 v39, vcc, v29, v17, vcc
	global_load_dwordx4 v[20:23], v[20:21], off
	v_add_co_u32_e32 v10, vcc, s13, v10
	global_load_dwordx4 v[24:27], v[24:25], off
	s_nop 0
	global_load_dwordx4 v[28:31], v[38:39], off
	global_load_dwordx4 v[32:35], v[36:37], off
	v_lshlrev_b64 v[36:37], 4, v[0:1]
	v_addc_co_u32_e32 v11, vcc, v11, v19, vcc
	v_add_co_u32_e32 v36, vcc, s16, v36
	v_addc_co_u32_e32 v37, vcc, v12, v37, vcc
	v_cmp_le_i64_e32 vcc, s[24:25], v[10:11]
	v_add_co_u32_e64 v38, s[0:1], s40, v36
	v_addc_co_u32_e64 v39, s[0:1], v37, v18, s[0:1]
	s_or_b64 s[2:3], vcc, s[2:3]
	v_add_co_u32_e32 v40, vcc, s40, v38
	v_addc_co_u32_e32 v41, vcc, v39, v18, vcc
	s_waitcnt vmcnt(4)
	v_mul_f64 v[44:45], v[2:3], v[8:9]
	v_mul_f64 v[42:43], v[4:5], v[8:9]
	v_fmac_f64_e32 v[44:45], v[4:5], v[6:7]
	s_waitcnt vmcnt(3)
	v_mul_f64 v[48:49], v[2:3], v[22:23]
	v_mul_f64 v[46:47], v[4:5], v[22:23]
	v_fmac_f64_e32 v[48:49], v[4:5], v[20:21]
	s_waitcnt vmcnt(2)
	v_mul_f64 v[50:51], v[8:9], v[26:27]
	v_mul_f64 v[52:53], v[6:7], v[26:27]
	s_waitcnt vmcnt(0)
	v_mul_f64 v[4:5], v[34:35], v[26:27]
	v_fma_f64 v[42:43], v[2:3], v[6:7], -v[42:43]
	v_fma_f64 v[46:47], v[2:3], v[20:21], -v[46:47]
	v_mul_f64 v[2:3], v[30:31], v[34:35]
	v_fma_f64 v[50:51], v[6:7], v[24:25], -v[50:51]
	v_fmac_f64_e32 v[52:53], v[8:9], v[24:25]
	v_mul_f64 v[8:9], v[32:33], v[26:27]
	v_fma_f64 v[6:7], v[32:33], v[24:25], -v[4:5]
	v_mul_f64 v[4:5], v[28:29], v[34:35]
	v_fmac_f64_e32 v[8:9], v[34:35], v[24:25]
	v_mul_f64 v[24:25], v[30:31], v[22:23]
	v_fma_f64 v[2:3], v[28:29], v[32:33], -v[2:3]
	v_fmac_f64_e32 v[4:5], v[30:31], v[32:33]
	v_mul_f64 v[22:23], v[28:29], v[22:23]
	v_fma_f64 v[24:25], v[28:29], v[20:21], -v[24:25]
	v_fmac_f64_e32 v[22:23], v[30:31], v[20:21]
	v_add_f64 v[2:3], v[42:43], -v[2:3]
	v_add_f64 v[4:5], v[44:45], -v[4:5]
	v_add_f64 v[6:7], v[6:7], -v[46:47]
	v_add_f64 v[8:9], v[8:9], -v[48:49]
	v_add_f64 v[20:21], v[24:25], -v[50:51]
	v_add_f64 v[22:23], v[22:23], -v[52:53]
	global_store_dwordx4 v[36:37], v[2:5], off
	global_store_dwordx4 v[38:39], v[6:9], off
	;; [unrolled: 1-line block ×3, first 2 shown]
	s_andn2_b64 exec, exec, s[2:3]
	s_cbranch_execz .LBB15_13
.LBB15_3:                               ; =>This Loop Header: Depth=1
                                        ;     Child Loop BB15_6 Depth 2
	s_andn2_b64 vcc, exec, s[26:27]
	s_cbranch_vccnz .LBB15_10
; %bb.4:                                ;   in Loop: Header=BB15_3 Depth=1
	s_andn2_b64 vcc, exec, s[28:29]
	v_mov_b32_e32 v2, 0
	v_mov_b32_e32 v4, 0
	;; [unrolled: 1-line block ×3, first 2 shown]
	s_cbranch_vccnz .LBB15_9
; %bb.5:                                ;   in Loop: Header=BB15_3 Depth=1
	v_mov_b32_e32 v0, 0
	s_mov_b32 s7, s22
	s_mov_b64 s[0:1], s[4:5]
	v_mov_b32_e32 v3, v10
	v_mov_b32_e32 v4, v0
	;; [unrolled: 1-line block ×3, first 2 shown]
.LBB15_6:                               ;   Parent Loop BB15_3 Depth=1
                                        ; =>  This Inner Loop Header: Depth=2
	s_mov_b64 s[52:53], s[0:1]
	s_load_dwordx4 s[44:47], s[52:53], 0x18
	s_load_dwordx2 s[54:55], s[52:53], 0x28
	s_load_dwordx2 s[56:57], s[52:53], 0xe8
	s_load_dwordx4 s[48:51], s[52:53], 0xd8
	s_add_u32 s0, s52, 24
	s_waitcnt lgkmcnt(0)
	v_mul_hi_u32 v5, s45, v3
	v_add_u32_e32 v5, v3, v5
	v_lshrrev_b32_e32 v5, s46, v5
	v_mul_lo_u32 v6, v5, s44
	v_mul_hi_u32 v7, s54, v5
	v_sub_u32_e32 v3, v3, v6
	v_add_u32_e32 v6, v5, v7
	v_mul_lo_u32 v7, v3, s48
	v_mul_lo_u32 v8, v3, s49
	;; [unrolled: 1-line block ×3, first 2 shown]
	v_lshrrev_b32_e32 v3, s55, v6
	v_mul_lo_u32 v6, v3, s47
	v_sub_u32_e32 v5, v5, v6
	s_addc_u32 s1, s53, 0
	s_add_i32 s7, s7, -2
	v_mul_lo_u32 v6, v5, s51
	v_mul_lo_u32 v20, v5, s56
	;; [unrolled: 1-line block ×3, first 2 shown]
	s_cmp_lg_u32 s7, 0
	v_add3_u32 v0, v7, v0, v6
	v_add3_u32 v2, v9, v2, v5
	;; [unrolled: 1-line block ×3, first 2 shown]
	s_cbranch_scc1 .LBB15_6
; %bb.7:                                ;   in Loop: Header=BB15_3 Depth=1
	s_andn2_b64 vcc, exec, s[36:37]
	s_cbranch_vccnz .LBB15_9
; %bb.8:                                ;   in Loop: Header=BB15_3 Depth=1
	s_load_dwordx2 s[44:45], s[0:1], 0x18
	s_load_dword s7, s[0:1], 0x20
	s_load_dword s17, s[0:1], 0xe0
	s_load_dwordx2 s[46:47], s[0:1], 0xd8
	s_waitcnt lgkmcnt(0)
	v_mul_hi_u32 v5, s45, v3
	v_add_u32_e32 v5, v3, v5
	v_lshrrev_b32_e32 v5, s7, v5
	v_mul_lo_u32 v5, v5, s44
	v_sub_u32_e32 v3, v3, v5
	v_mad_u64_u32 v[6:7], s[0:1], v3, s46, v[0:1]
	v_mad_u64_u32 v[4:5], s[0:1], v3, s47, v[4:5]
	;; [unrolled: 1-line block ×3, first 2 shown]
	v_mov_b32_e32 v0, v6
.LBB15_9:                               ;   in Loop: Header=BB15_3 Depth=1
	s_cbranch_execnz .LBB15_2
	s_branch .LBB15_11
.LBB15_10:                              ;   in Loop: Header=BB15_3 Depth=1
                                        ; implicit-def: $vgpr2
                                        ; implicit-def: $vgpr4
.LBB15_11:                              ;   in Loop: Header=BB15_3 Depth=1
	v_mul_hi_u32 v0, v10, s10
	v_add_u32_e32 v0, v0, v10
	v_lshrrev_b32_e32 v3, s11, v0
	v_mul_lo_u32 v0, v3, s9
	v_sub_u32_e32 v4, v10, v0
	v_mul_lo_u32 v0, v4, s20
	v_mul_lo_u32 v2, v4, s21
	s_andn2_b64 vcc, exec, s[34:35]
	v_mul_lo_u32 v4, v4, s15
	s_cbranch_vccnz .LBB15_2
; %bb.12:                               ;   in Loop: Header=BB15_3 Depth=1
	v_mul_hi_u32 v5, s8, v3
	v_add_u32_e32 v5, v3, v5
	v_lshrrev_b32_e32 v5, s14, v5
	v_mul_lo_u32 v5, v5, s12
	v_sub_u32_e32 v3, v3, v5
	v_mad_u64_u32 v[6:7], s[0:1], v3, s23, v[0:1]
	v_mad_u64_u32 v[4:5], s[0:1], v3, s30, v[4:5]
	;; [unrolled: 1-line block ×3, first 2 shown]
	v_mov_b32_e32 v0, v6
	s_branch .LBB15_2
.LBB15_13:
	s_endpgm
	.section	.rodata,"a",@progbits
	.p2align	6, 0x0
	.amdhsa_kernel _ZN2at6native12cross_kernelIN3c107complexIdEE16OffsetCalculatorILi3EjLb0EEiEEviPT_PKS7_SA_T0_T1_SC_SC_
		.amdhsa_group_segment_fixed_size 0
		.amdhsa_private_segment_fixed_size 0
		.amdhsa_kernarg_size 688
		.amdhsa_user_sgpr_count 6
		.amdhsa_user_sgpr_private_segment_buffer 1
		.amdhsa_user_sgpr_dispatch_ptr 0
		.amdhsa_user_sgpr_queue_ptr 0
		.amdhsa_user_sgpr_kernarg_segment_ptr 1
		.amdhsa_user_sgpr_dispatch_id 0
		.amdhsa_user_sgpr_flat_scratch_init 0
		.amdhsa_user_sgpr_kernarg_preload_length 0
		.amdhsa_user_sgpr_kernarg_preload_offset 0
		.amdhsa_user_sgpr_private_segment_size 0
		.amdhsa_uses_dynamic_stack 0
		.amdhsa_system_sgpr_private_segment_wavefront_offset 0
		.amdhsa_system_sgpr_workgroup_id_x 1
		.amdhsa_system_sgpr_workgroup_id_y 0
		.amdhsa_system_sgpr_workgroup_id_z 0
		.amdhsa_system_sgpr_workgroup_info 0
		.amdhsa_system_vgpr_workitem_id 0
		.amdhsa_next_free_vgpr 54
		.amdhsa_next_free_sgpr 58
		.amdhsa_accum_offset 56
		.amdhsa_reserve_vcc 1
		.amdhsa_reserve_flat_scratch 0
		.amdhsa_float_round_mode_32 0
		.amdhsa_float_round_mode_16_64 0
		.amdhsa_float_denorm_mode_32 3
		.amdhsa_float_denorm_mode_16_64 3
		.amdhsa_dx10_clamp 1
		.amdhsa_ieee_mode 1
		.amdhsa_fp16_overflow 0
		.amdhsa_tg_split 0
		.amdhsa_exception_fp_ieee_invalid_op 0
		.amdhsa_exception_fp_denorm_src 0
		.amdhsa_exception_fp_ieee_div_zero 0
		.amdhsa_exception_fp_ieee_overflow 0
		.amdhsa_exception_fp_ieee_underflow 0
		.amdhsa_exception_fp_ieee_inexact 0
		.amdhsa_exception_int_div_zero 0
	.end_amdhsa_kernel
	.section	.text._ZN2at6native12cross_kernelIN3c107complexIdEE16OffsetCalculatorILi3EjLb0EEiEEviPT_PKS7_SA_T0_T1_SC_SC_,"axG",@progbits,_ZN2at6native12cross_kernelIN3c107complexIdEE16OffsetCalculatorILi3EjLb0EEiEEviPT_PKS7_SA_T0_T1_SC_SC_,comdat
.Lfunc_end15:
	.size	_ZN2at6native12cross_kernelIN3c107complexIdEE16OffsetCalculatorILi3EjLb0EEiEEviPT_PKS7_SA_T0_T1_SC_SC_, .Lfunc_end15-_ZN2at6native12cross_kernelIN3c107complexIdEE16OffsetCalculatorILi3EjLb0EEiEEviPT_PKS7_SA_T0_T1_SC_SC_
                                        ; -- End function
	.section	.AMDGPU.csdata,"",@progbits
; Kernel info:
; codeLenInByte = 1216
; NumSgprs: 62
; NumVgprs: 54
; NumAgprs: 0
; TotalNumVgprs: 54
; ScratchSize: 0
; MemoryBound: 0
; FloatMode: 240
; IeeeMode: 1
; LDSByteSize: 0 bytes/workgroup (compile time only)
; SGPRBlocks: 7
; VGPRBlocks: 6
; NumSGPRsForWavesPerEU: 62
; NumVGPRsForWavesPerEU: 54
; AccumOffset: 56
; Occupancy: 8
; WaveLimiterHint : 1
; COMPUTE_PGM_RSRC2:SCRATCH_EN: 0
; COMPUTE_PGM_RSRC2:USER_SGPR: 6
; COMPUTE_PGM_RSRC2:TRAP_HANDLER: 0
; COMPUTE_PGM_RSRC2:TGID_X_EN: 1
; COMPUTE_PGM_RSRC2:TGID_Y_EN: 0
; COMPUTE_PGM_RSRC2:TGID_Z_EN: 0
; COMPUTE_PGM_RSRC2:TIDIG_COMP_CNT: 0
; COMPUTE_PGM_RSRC3_GFX90A:ACCUM_OFFSET: 13
; COMPUTE_PGM_RSRC3_GFX90A:TG_SPLIT: 0
	.section	.text._ZN2at6native12cross_kernelIN3c107complexIfEE16OffsetCalculatorILi3EjLb0EElEEviPT_PKS7_SA_T0_T1_SC_SC_,"axG",@progbits,_ZN2at6native12cross_kernelIN3c107complexIfEE16OffsetCalculatorILi3EjLb0EElEEviPT_PKS7_SA_T0_T1_SC_SC_,comdat
	.protected	_ZN2at6native12cross_kernelIN3c107complexIfEE16OffsetCalculatorILi3EjLb0EElEEviPT_PKS7_SA_T0_T1_SC_SC_ ; -- Begin function _ZN2at6native12cross_kernelIN3c107complexIfEE16OffsetCalculatorILi3EjLb0EElEEviPT_PKS7_SA_T0_T1_SC_SC_
	.globl	_ZN2at6native12cross_kernelIN3c107complexIfEE16OffsetCalculatorILi3EjLb0EElEEviPT_PKS7_SA_T0_T1_SC_SC_
	.p2align	8
	.type	_ZN2at6native12cross_kernelIN3c107complexIfEE16OffsetCalculatorILi3EjLb0EElEEviPT_PKS7_SA_T0_T1_SC_SC_,@function
_ZN2at6native12cross_kernelIN3c107complexIfEE16OffsetCalculatorILi3EjLb0EElEEviPT_PKS7_SA_T0_T1_SC_SC_: ; @_ZN2at6native12cross_kernelIN3c107complexIfEE16OffsetCalculatorILi3EjLb0EElEEviPT_PKS7_SA_T0_T1_SC_SC_
; %bb.0:
	s_load_dword s24, s[4:5], 0x0
	s_load_dword s0, s[4:5], 0x1cc
	v_mov_b32_e32 v1, 0
	v_mov_b32_e32 v2, s6
	s_waitcnt lgkmcnt(0)
	s_ashr_i32 s25, s24, 31
	s_add_u32 s20, s4, 0x1c0
	s_addc_u32 s21, s5, 0
	s_and_b32 s33, s0, 0xffff
	v_mad_u64_u32 v[2:3], s[0:1], s33, v2, v[0:1]
	v_cmp_gt_i64_e32 vcc, s[24:25], v[2:3]
	s_and_saveexec_b64 s[0:1], vcc
	s_cbranch_execz .LBB16_13
; %bb.1:
	s_load_dwordx8 s[8:15], s[4:5], 0x20
	s_load_dwordx4 s[16:19], s[4:5], 0x8
	s_load_dwordx2 s[6:7], s[4:5], 0x18
	s_load_dwordx2 s[40:41], s[4:5], 0x1b8
	s_load_dwordx4 s[0:3], s[4:5], 0x1a8
	s_load_dword s38, s[20:21], 0x0
	s_waitcnt lgkmcnt(0)
	s_add_i32 s15, s8, -1
	s_load_dwordx4 s[20:23], s[4:5], 0xe4
	s_load_dwordx2 s[30:31], s[4:5], 0xf4
	s_cmp_gt_u32 s15, 1
	s_cselect_b64 s[26:27], -1, 0
	s_cmp_lg_u32 s8, 0
	s_cselect_b64 s[28:29], -1, 0
	s_min_u32 s39, s15, 15
	s_cmp_gt_u32 s8, 1
	s_waitcnt lgkmcnt(0)
	s_mov_b32 s15, s21
	s_mov_b32 s21, s22
	s_cselect_b64 s[34:35], -1, 0
	s_add_i32 s22, s39, 1
	s_lshl_b64 s[36:37], s[40:41], 4
	s_and_b32 s22, s22, 30
	s_bitcmp0_b32 s39, 0
	s_mov_b32 s8, s13
	s_mul_i32 s13, s38, s33
	s_cselect_b64 s[38:39], -1, 0
	s_lshl_b64 s[2:3], s[2:3], 3
	s_lshl_b64 s[42:43], s[40:41], 3
	s_sub_u32 s33, 0, s42
	s_subb_u32 s45, 0, s43
	s_lshl_b64 s[42:43], s[0:1], 3
	s_mov_b32 s44, 0
	s_add_u32 s4, s4, 12
	s_mov_b64 s[40:41], 0
	s_addc_u32 s5, s5, 0
	v_mov_b32_e32 v8, s17
	v_mov_b32_e32 v9, s19
	;; [unrolled: 1-line block ×8, first 2 shown]
	s_branch .LBB16_3
.LBB16_2:                               ;   in Loop: Header=BB16_3 Depth=1
	v_mov_b32_e32 v7, v1
	v_lshlrev_b64 v[6:7], 3, v[6:7]
	v_add_co_u32_e32 v6, vcc, s18, v6
	v_mov_b32_e32 v5, v1
	v_addc_co_u32_e32 v7, vcc, v9, v7, vcc
	v_lshlrev_b64 v[4:5], 3, v[4:5]
	v_add_co_u32_e32 v4, vcc, s6, v4
	v_addc_co_u32_e32 v5, vcc, v10, v5, vcc
	v_add_co_u32_e32 v16, vcc, s2, v6
	v_addc_co_u32_e32 v17, vcc, v7, v11, vcc
	;; [unrolled: 2-line block ×3, first 2 shown]
	global_load_dwordx2 v[20:21], v[16:17], off
	global_load_dwordx2 v[22:23], v[18:19], off
	v_add_co_u32_e32 v16, vcc, s2, v16
	v_addc_co_u32_e32 v17, vcc, v17, v11, vcc
	global_load_dwordx2 v[24:25], v[4:5], off
	global_load_dwordx2 v[26:27], v[6:7], off
	v_add_co_u32_e32 v4, vcc, s33, v18
	v_addc_co_u32_e32 v5, vcc, v19, v13, vcc
	global_load_dwordx2 v[6:7], v[16:17], off
	global_load_dwordx2 v[18:19], v[4:5], off
	v_add_co_u32_e32 v2, vcc, s13, v2
	v_lshlrev_b64 v[4:5], 3, v[0:1]
	v_addc_co_u32_e32 v3, vcc, v3, v15, vcc
	v_add_co_u32_e32 v4, vcc, s16, v4
	v_addc_co_u32_e32 v5, vcc, v8, v5, vcc
	v_cmp_le_i64_e32 vcc, s[24:25], v[2:3]
	v_add_co_u32_e64 v16, s[0:1], s42, v4
	v_addc_co_u32_e64 v17, s[0:1], v5, v14, s[0:1]
	s_or_b64 s[40:41], vcc, s[40:41]
	v_add_co_u32_e32 v28, vcc, s42, v16
	v_addc_co_u32_e32 v29, vcc, v17, v14, vcc
	s_waitcnt vmcnt(4)
	v_mul_f32_e32 v0, v23, v21
	v_mul_f32_e32 v30, v22, v21
	v_fma_f32 v0, v22, v20, -v0
	v_fmac_f32_e32 v30, v23, v20
	s_waitcnt vmcnt(3)
	v_mul_f32_e32 v34, v25, v20
	s_waitcnt vmcnt(2)
	v_mul_f32_e32 v32, v22, v27
	v_mul_f32_e32 v31, v23, v27
	;; [unrolled: 1-line block ×3, first 2 shown]
	v_fmac_f32_e32 v32, v23, v26
	s_waitcnt vmcnt(1)
	v_mul_f32_e32 v37, v25, v7
	s_waitcnt vmcnt(0)
	v_mul_f32_e32 v35, v19, v7
	v_mul_f32_e32 v36, v18, v7
	;; [unrolled: 1-line block ×5, first 2 shown]
	v_fmac_f32_e32 v34, v24, v21
	v_fma_f32 v21, v18, v6, -v35
	v_fmac_f32_e32 v36, v19, v6
	v_fma_f32 v22, v22, v26, -v31
	v_fma_f32 v20, v24, v20, -v33
	;; [unrolled: 1-line block ×3, first 2 shown]
	v_fmac_f32_e32 v25, v24, v7
	v_fma_f32 v23, v18, v26, -v23
	v_fmac_f32_e32 v27, v19, v26
	v_sub_f32_e32 v6, v0, v21
	v_sub_f32_e32 v7, v30, v36
	;; [unrolled: 1-line block ×6, first 2 shown]
	global_store_dwordx2 v[4:5], v[6:7], off
	global_store_dwordx2 v[16:17], v[18:19], off
	;; [unrolled: 1-line block ×3, first 2 shown]
	s_andn2_b64 exec, exec, s[40:41]
	s_cbranch_execz .LBB16_13
.LBB16_3:                               ; =>This Loop Header: Depth=1
                                        ;     Child Loop BB16_6 Depth 2
	s_andn2_b64 vcc, exec, s[26:27]
	s_cbranch_vccnz .LBB16_10
; %bb.4:                                ;   in Loop: Header=BB16_3 Depth=1
	s_andn2_b64 vcc, exec, s[28:29]
	v_mov_b32_e32 v4, 0
	v_mov_b32_e32 v6, 0
	;; [unrolled: 1-line block ×3, first 2 shown]
	s_cbranch_vccnz .LBB16_9
; %bb.5:                                ;   in Loop: Header=BB16_3 Depth=1
	v_mov_b32_e32 v0, 0
	s_mov_b32 s3, s22
	s_mov_b64 s[0:1], s[4:5]
	v_mov_b32_e32 v5, v2
	v_mov_b32_e32 v6, v0
	;; [unrolled: 1-line block ×3, first 2 shown]
.LBB16_6:                               ;   Parent Loop BB16_3 Depth=1
                                        ; =>  This Inner Loop Header: Depth=2
	s_mov_b64 s[52:53], s[0:1]
	s_load_dwordx4 s[44:47], s[52:53], 0x18
	s_load_dwordx2 s[54:55], s[52:53], 0x28
	s_load_dwordx2 s[56:57], s[52:53], 0xe8
	s_load_dwordx4 s[48:51], s[52:53], 0xd8
	s_add_u32 s0, s52, 24
	s_waitcnt lgkmcnt(0)
	v_mul_hi_u32 v7, s45, v5
	v_add_u32_e32 v7, v5, v7
	v_lshrrev_b32_e32 v7, s46, v7
	v_mul_lo_u32 v16, v7, s44
	v_mul_hi_u32 v17, s54, v7
	v_sub_u32_e32 v5, v5, v16
	v_add_u32_e32 v16, v7, v17
	v_mul_lo_u32 v17, v5, s48
	v_mul_lo_u32 v18, v5, s49
	;; [unrolled: 1-line block ×3, first 2 shown]
	v_lshrrev_b32_e32 v5, s55, v16
	v_mul_lo_u32 v16, v5, s47
	v_sub_u32_e32 v7, v7, v16
	s_addc_u32 s1, s53, 0
	s_add_i32 s3, s3, -2
	v_mul_lo_u32 v16, v7, s51
	v_mul_lo_u32 v20, v7, s56
	;; [unrolled: 1-line block ×3, first 2 shown]
	s_cmp_lg_u32 s3, 0
	v_add3_u32 v0, v17, v0, v16
	v_add3_u32 v4, v19, v4, v7
	;; [unrolled: 1-line block ×3, first 2 shown]
	s_cbranch_scc1 .LBB16_6
; %bb.7:                                ;   in Loop: Header=BB16_3 Depth=1
	s_andn2_b64 vcc, exec, s[38:39]
	s_cbranch_vccnz .LBB16_9
; %bb.8:                                ;   in Loop: Header=BB16_3 Depth=1
	s_load_dwordx2 s[44:45], s[0:1], 0x18
	s_load_dword s3, s[0:1], 0x20
	s_load_dword s7, s[0:1], 0xe0
	s_load_dwordx2 s[46:47], s[0:1], 0xd8
	s_waitcnt lgkmcnt(0)
	v_mul_hi_u32 v7, s45, v5
	v_add_u32_e32 v7, v5, v7
	v_lshrrev_b32_e32 v7, s3, v7
	v_mul_lo_u32 v7, v7, s44
	v_sub_u32_e32 v5, v5, v7
	v_mad_u64_u32 v[16:17], s[0:1], v5, s46, v[0:1]
	v_mad_u64_u32 v[6:7], s[0:1], v5, s47, v[6:7]
	v_mad_u64_u32 v[4:5], s[0:1], v5, s7, v[4:5]
	v_mov_b32_e32 v0, v16
.LBB16_9:                               ;   in Loop: Header=BB16_3 Depth=1
	s_cbranch_execnz .LBB16_2
	s_branch .LBB16_11
.LBB16_10:                              ;   in Loop: Header=BB16_3 Depth=1
                                        ; implicit-def: $vgpr4
                                        ; implicit-def: $vgpr6
.LBB16_11:                              ;   in Loop: Header=BB16_3 Depth=1
	v_mul_hi_u32 v0, v2, s10
	v_add_u32_e32 v0, v0, v2
	v_lshrrev_b32_e32 v5, s11, v0
	v_mul_lo_u32 v0, v5, s9
	v_sub_u32_e32 v6, v2, v0
	v_mul_lo_u32 v0, v6, s20
	v_mul_lo_u32 v4, v6, s21
	s_andn2_b64 vcc, exec, s[34:35]
	v_mul_lo_u32 v6, v6, s15
	s_cbranch_vccnz .LBB16_2
; %bb.12:                               ;   in Loop: Header=BB16_3 Depth=1
	v_mul_hi_u32 v7, s8, v5
	v_add_u32_e32 v7, v5, v7
	v_lshrrev_b32_e32 v7, s14, v7
	v_mul_lo_u32 v7, v7, s12
	v_sub_u32_e32 v5, v5, v7
	v_mad_u64_u32 v[16:17], s[0:1], v5, s23, v[0:1]
	v_mad_u64_u32 v[6:7], s[0:1], v5, s30, v[6:7]
	;; [unrolled: 1-line block ×3, first 2 shown]
	v_mov_b32_e32 v0, v16
	s_branch .LBB16_2
.LBB16_13:
	s_endpgm
	.section	.rodata,"a",@progbits
	.p2align	6, 0x0
	.amdhsa_kernel _ZN2at6native12cross_kernelIN3c107complexIfEE16OffsetCalculatorILi3EjLb0EElEEviPT_PKS7_SA_T0_T1_SC_SC_
		.amdhsa_group_segment_fixed_size 0
		.amdhsa_private_segment_fixed_size 0
		.amdhsa_kernarg_size 704
		.amdhsa_user_sgpr_count 6
		.amdhsa_user_sgpr_private_segment_buffer 1
		.amdhsa_user_sgpr_dispatch_ptr 0
		.amdhsa_user_sgpr_queue_ptr 0
		.amdhsa_user_sgpr_kernarg_segment_ptr 1
		.amdhsa_user_sgpr_dispatch_id 0
		.amdhsa_user_sgpr_flat_scratch_init 0
		.amdhsa_user_sgpr_kernarg_preload_length 0
		.amdhsa_user_sgpr_kernarg_preload_offset 0
		.amdhsa_user_sgpr_private_segment_size 0
		.amdhsa_uses_dynamic_stack 0
		.amdhsa_system_sgpr_private_segment_wavefront_offset 0
		.amdhsa_system_sgpr_workgroup_id_x 1
		.amdhsa_system_sgpr_workgroup_id_y 0
		.amdhsa_system_sgpr_workgroup_id_z 0
		.amdhsa_system_sgpr_workgroup_info 0
		.amdhsa_system_vgpr_workitem_id 0
		.amdhsa_next_free_vgpr 38
		.amdhsa_next_free_sgpr 58
		.amdhsa_accum_offset 40
		.amdhsa_reserve_vcc 1
		.amdhsa_reserve_flat_scratch 0
		.amdhsa_float_round_mode_32 0
		.amdhsa_float_round_mode_16_64 0
		.amdhsa_float_denorm_mode_32 3
		.amdhsa_float_denorm_mode_16_64 3
		.amdhsa_dx10_clamp 1
		.amdhsa_ieee_mode 1
		.amdhsa_fp16_overflow 0
		.amdhsa_tg_split 0
		.amdhsa_exception_fp_ieee_invalid_op 0
		.amdhsa_exception_fp_denorm_src 0
		.amdhsa_exception_fp_ieee_div_zero 0
		.amdhsa_exception_fp_ieee_overflow 0
		.amdhsa_exception_fp_ieee_underflow 0
		.amdhsa_exception_fp_ieee_inexact 0
		.amdhsa_exception_int_div_zero 0
	.end_amdhsa_kernel
	.section	.text._ZN2at6native12cross_kernelIN3c107complexIfEE16OffsetCalculatorILi3EjLb0EElEEviPT_PKS7_SA_T0_T1_SC_SC_,"axG",@progbits,_ZN2at6native12cross_kernelIN3c107complexIfEE16OffsetCalculatorILi3EjLb0EElEEviPT_PKS7_SA_T0_T1_SC_SC_,comdat
.Lfunc_end16:
	.size	_ZN2at6native12cross_kernelIN3c107complexIfEE16OffsetCalculatorILi3EjLb0EElEEviPT_PKS7_SA_T0_T1_SC_SC_, .Lfunc_end16-_ZN2at6native12cross_kernelIN3c107complexIfEE16OffsetCalculatorILi3EjLb0EElEEviPT_PKS7_SA_T0_T1_SC_SC_
                                        ; -- End function
	.section	.AMDGPU.csdata,"",@progbits
; Kernel info:
; codeLenInByte = 1128
; NumSgprs: 62
; NumVgprs: 38
; NumAgprs: 0
; TotalNumVgprs: 38
; ScratchSize: 0
; MemoryBound: 0
; FloatMode: 240
; IeeeMode: 1
; LDSByteSize: 0 bytes/workgroup (compile time only)
; SGPRBlocks: 7
; VGPRBlocks: 4
; NumSGPRsForWavesPerEU: 62
; NumVGPRsForWavesPerEU: 38
; AccumOffset: 40
; Occupancy: 8
; WaveLimiterHint : 1
; COMPUTE_PGM_RSRC2:SCRATCH_EN: 0
; COMPUTE_PGM_RSRC2:USER_SGPR: 6
; COMPUTE_PGM_RSRC2:TRAP_HANDLER: 0
; COMPUTE_PGM_RSRC2:TGID_X_EN: 1
; COMPUTE_PGM_RSRC2:TGID_Y_EN: 0
; COMPUTE_PGM_RSRC2:TGID_Z_EN: 0
; COMPUTE_PGM_RSRC2:TIDIG_COMP_CNT: 0
; COMPUTE_PGM_RSRC3_GFX90A:ACCUM_OFFSET: 9
; COMPUTE_PGM_RSRC3_GFX90A:TG_SPLIT: 0
	.section	.text._ZN2at6native12cross_kernelIN3c107complexIfEE16OffsetCalculatorILi3EjLb0EEiEEviPT_PKS7_SA_T0_T1_SC_SC_,"axG",@progbits,_ZN2at6native12cross_kernelIN3c107complexIfEE16OffsetCalculatorILi3EjLb0EEiEEviPT_PKS7_SA_T0_T1_SC_SC_,comdat
	.protected	_ZN2at6native12cross_kernelIN3c107complexIfEE16OffsetCalculatorILi3EjLb0EEiEEviPT_PKS7_SA_T0_T1_SC_SC_ ; -- Begin function _ZN2at6native12cross_kernelIN3c107complexIfEE16OffsetCalculatorILi3EjLb0EEiEEviPT_PKS7_SA_T0_T1_SC_SC_
	.globl	_ZN2at6native12cross_kernelIN3c107complexIfEE16OffsetCalculatorILi3EjLb0EEiEEviPT_PKS7_SA_T0_T1_SC_SC_
	.p2align	8
	.type	_ZN2at6native12cross_kernelIN3c107complexIfEE16OffsetCalculatorILi3EjLb0EEiEEviPT_PKS7_SA_T0_T1_SC_SC_,@function
_ZN2at6native12cross_kernelIN3c107complexIfEE16OffsetCalculatorILi3EjLb0EEiEEviPT_PKS7_SA_T0_T1_SC_SC_: ; @_ZN2at6native12cross_kernelIN3c107complexIfEE16OffsetCalculatorILi3EjLb0EEiEEviPT_PKS7_SA_T0_T1_SC_SC_
; %bb.0:
	s_load_dword s24, s[4:5], 0x0
	s_load_dword s0, s[4:5], 0x1bc
	v_mov_b32_e32 v1, 0
	v_mov_b32_e32 v2, s6
	s_waitcnt lgkmcnt(0)
	s_ashr_i32 s25, s24, 31
	s_add_u32 s20, s4, 0x1b0
	s_addc_u32 s21, s5, 0
	s_and_b32 s33, s0, 0xffff
	v_mad_u64_u32 v[2:3], s[0:1], s33, v2, v[0:1]
	v_cmp_gt_i64_e32 vcc, s[24:25], v[2:3]
	s_and_saveexec_b64 s[0:1], vcc
	s_cbranch_execz .LBB17_13
; %bb.1:
	s_load_dwordx8 s[8:15], s[4:5], 0x20
	s_load_dwordx4 s[16:19], s[4:5], 0x8
	s_load_dwordx2 s[6:7], s[4:5], 0x18
	s_load_dwordx4 s[0:3], s[4:5], 0x1a4
	s_waitcnt lgkmcnt(0)
	s_load_dword s3, s[20:21], 0x0
	s_add_i32 s15, s8, -1
                                        ; kill: killed $sgpr20 killed $sgpr21
	s_cmp_gt_u32 s15, 1
	s_load_dwordx4 s[20:23], s[4:5], 0xe4
	s_load_dwordx2 s[30:31], s[4:5], 0xf4
	s_cselect_b64 s[26:27], -1, 0
	s_cmp_lg_u32 s8, 0
	s_cselect_b64 s[28:29], -1, 0
	s_min_u32 s36, s15, 15
	s_cmp_gt_u32 s8, 1
	s_cselect_b64 s[34:35], -1, 0
	s_mov_b32 s8, s13
	s_lshl_b32 s42, s2, 1
	s_waitcnt lgkmcnt(0)
	s_mul_i32 s13, s3, s33
	s_add_i32 s3, s36, 1
	s_mov_b32 s15, s21
	s_mov_b32 s21, s22
	s_ashr_i32 s39, s1, 31
	s_mov_b32 s38, s1
	s_ashr_i32 s43, s42, 31
	s_ashr_i32 s1, s0, 31
	s_and_b32 s22, s3, 30
	s_bitcmp0_b32 s36, 0
	s_cselect_b64 s[36:37], -1, 0
	s_ashr_i32 s3, s2, 31
	s_lshl_b64 s[38:39], s[38:39], 3
	s_lshl_b64 s[40:41], s[2:3], 3
	s_sub_u32 s33, 0, s40
	s_subb_u32 s45, 0, s41
	s_lshl_b64 s[40:41], s[0:1], 3
	s_add_u32 s4, s4, 12
	s_mov_b32 s44, 0
	s_addc_u32 s5, s5, 0
	s_lshl_b64 s[42:43], s[42:43], 3
	s_mov_b64 s[2:3], 0
	v_mov_b32_e32 v8, s17
	v_mov_b32_e32 v9, s19
	;; [unrolled: 1-line block ×8, first 2 shown]
	s_branch .LBB17_3
.LBB17_2:                               ;   in Loop: Header=BB17_3 Depth=1
	v_mov_b32_e32 v7, v1
	v_lshlrev_b64 v[6:7], 3, v[6:7]
	v_add_co_u32_e32 v6, vcc, s18, v6
	v_mov_b32_e32 v5, v1
	v_addc_co_u32_e32 v7, vcc, v9, v7, vcc
	v_lshlrev_b64 v[4:5], 3, v[4:5]
	v_add_co_u32_e32 v4, vcc, s6, v4
	v_addc_co_u32_e32 v5, vcc, v10, v5, vcc
	v_add_co_u32_e32 v16, vcc, s38, v6
	v_addc_co_u32_e32 v17, vcc, v7, v11, vcc
	;; [unrolled: 2-line block ×3, first 2 shown]
	global_load_dwordx2 v[20:21], v[16:17], off
	global_load_dwordx2 v[22:23], v[18:19], off
	v_add_co_u32_e32 v16, vcc, s38, v16
	v_addc_co_u32_e32 v17, vcc, v17, v11, vcc
	global_load_dwordx2 v[24:25], v[4:5], off
	global_load_dwordx2 v[26:27], v[6:7], off
	v_add_co_u32_e32 v4, vcc, s33, v18
	v_addc_co_u32_e32 v5, vcc, v19, v13, vcc
	global_load_dwordx2 v[6:7], v[16:17], off
	global_load_dwordx2 v[18:19], v[4:5], off
	v_add_co_u32_e32 v2, vcc, s13, v2
	v_lshlrev_b64 v[4:5], 3, v[0:1]
	v_addc_co_u32_e32 v3, vcc, v3, v15, vcc
	v_add_co_u32_e32 v4, vcc, s16, v4
	v_addc_co_u32_e32 v5, vcc, v8, v5, vcc
	v_cmp_le_i64_e32 vcc, s[24:25], v[2:3]
	v_add_co_u32_e64 v16, s[0:1], s40, v4
	v_addc_co_u32_e64 v17, s[0:1], v5, v14, s[0:1]
	s_or_b64 s[2:3], vcc, s[2:3]
	v_add_co_u32_e32 v28, vcc, s40, v16
	v_addc_co_u32_e32 v29, vcc, v17, v14, vcc
	s_waitcnt vmcnt(4)
	v_mul_f32_e32 v0, v23, v21
	v_mul_f32_e32 v30, v22, v21
	v_fma_f32 v0, v22, v20, -v0
	v_fmac_f32_e32 v30, v23, v20
	s_waitcnt vmcnt(3)
	v_mul_f32_e32 v34, v25, v20
	s_waitcnt vmcnt(2)
	v_mul_f32_e32 v32, v22, v27
	v_mul_f32_e32 v31, v23, v27
	;; [unrolled: 1-line block ×3, first 2 shown]
	v_fmac_f32_e32 v32, v23, v26
	s_waitcnt vmcnt(1)
	v_mul_f32_e32 v37, v25, v7
	s_waitcnt vmcnt(0)
	v_mul_f32_e32 v35, v19, v7
	v_mul_f32_e32 v36, v18, v7
	;; [unrolled: 1-line block ×5, first 2 shown]
	v_fmac_f32_e32 v34, v24, v21
	v_fma_f32 v21, v18, v6, -v35
	v_fmac_f32_e32 v36, v19, v6
	v_fma_f32 v22, v22, v26, -v31
	v_fma_f32 v20, v24, v20, -v33
	;; [unrolled: 1-line block ×3, first 2 shown]
	v_fmac_f32_e32 v25, v24, v7
	v_fma_f32 v23, v18, v26, -v23
	v_fmac_f32_e32 v27, v19, v26
	v_sub_f32_e32 v6, v0, v21
	v_sub_f32_e32 v7, v30, v36
	v_sub_f32_e32 v18, v31, v22
	v_sub_f32_e32 v19, v25, v32
	v_sub_f32_e32 v20, v23, v20
	v_sub_f32_e32 v21, v27, v34
	global_store_dwordx2 v[4:5], v[6:7], off
	global_store_dwordx2 v[16:17], v[18:19], off
	;; [unrolled: 1-line block ×3, first 2 shown]
	s_andn2_b64 exec, exec, s[2:3]
	s_cbranch_execz .LBB17_13
.LBB17_3:                               ; =>This Loop Header: Depth=1
                                        ;     Child Loop BB17_6 Depth 2
	s_andn2_b64 vcc, exec, s[26:27]
	s_cbranch_vccnz .LBB17_10
; %bb.4:                                ;   in Loop: Header=BB17_3 Depth=1
	s_andn2_b64 vcc, exec, s[28:29]
	v_mov_b32_e32 v4, 0
	v_mov_b32_e32 v6, 0
	;; [unrolled: 1-line block ×3, first 2 shown]
	s_cbranch_vccnz .LBB17_9
; %bb.5:                                ;   in Loop: Header=BB17_3 Depth=1
	v_mov_b32_e32 v0, 0
	s_mov_b32 s7, s22
	s_mov_b64 s[0:1], s[4:5]
	v_mov_b32_e32 v5, v2
	v_mov_b32_e32 v6, v0
	v_mov_b32_e32 v4, v0
.LBB17_6:                               ;   Parent Loop BB17_3 Depth=1
                                        ; =>  This Inner Loop Header: Depth=2
	s_mov_b64 s[52:53], s[0:1]
	s_load_dwordx4 s[44:47], s[52:53], 0x18
	s_load_dwordx2 s[54:55], s[52:53], 0x28
	s_load_dwordx2 s[56:57], s[52:53], 0xe8
	s_load_dwordx4 s[48:51], s[52:53], 0xd8
	s_add_u32 s0, s52, 24
	s_waitcnt lgkmcnt(0)
	v_mul_hi_u32 v7, s45, v5
	v_add_u32_e32 v7, v5, v7
	v_lshrrev_b32_e32 v7, s46, v7
	v_mul_lo_u32 v16, v7, s44
	v_mul_hi_u32 v17, s54, v7
	v_sub_u32_e32 v5, v5, v16
	v_add_u32_e32 v16, v7, v17
	v_mul_lo_u32 v17, v5, s48
	v_mul_lo_u32 v18, v5, s49
	;; [unrolled: 1-line block ×3, first 2 shown]
	v_lshrrev_b32_e32 v5, s55, v16
	v_mul_lo_u32 v16, v5, s47
	v_sub_u32_e32 v7, v7, v16
	s_addc_u32 s1, s53, 0
	s_add_i32 s7, s7, -2
	v_mul_lo_u32 v16, v7, s51
	v_mul_lo_u32 v20, v7, s56
	;; [unrolled: 1-line block ×3, first 2 shown]
	s_cmp_lg_u32 s7, 0
	v_add3_u32 v0, v17, v0, v16
	v_add3_u32 v4, v19, v4, v7
	;; [unrolled: 1-line block ×3, first 2 shown]
	s_cbranch_scc1 .LBB17_6
; %bb.7:                                ;   in Loop: Header=BB17_3 Depth=1
	s_andn2_b64 vcc, exec, s[36:37]
	s_cbranch_vccnz .LBB17_9
; %bb.8:                                ;   in Loop: Header=BB17_3 Depth=1
	s_load_dwordx2 s[44:45], s[0:1], 0x18
	s_load_dword s7, s[0:1], 0x20
	s_load_dword s17, s[0:1], 0xe0
	s_load_dwordx2 s[46:47], s[0:1], 0xd8
	s_waitcnt lgkmcnt(0)
	v_mul_hi_u32 v7, s45, v5
	v_add_u32_e32 v7, v5, v7
	v_lshrrev_b32_e32 v7, s7, v7
	v_mul_lo_u32 v7, v7, s44
	v_sub_u32_e32 v5, v5, v7
	v_mad_u64_u32 v[16:17], s[0:1], v5, s46, v[0:1]
	v_mad_u64_u32 v[6:7], s[0:1], v5, s47, v[6:7]
	;; [unrolled: 1-line block ×3, first 2 shown]
	v_mov_b32_e32 v0, v16
.LBB17_9:                               ;   in Loop: Header=BB17_3 Depth=1
	s_cbranch_execnz .LBB17_2
	s_branch .LBB17_11
.LBB17_10:                              ;   in Loop: Header=BB17_3 Depth=1
                                        ; implicit-def: $vgpr4
                                        ; implicit-def: $vgpr6
.LBB17_11:                              ;   in Loop: Header=BB17_3 Depth=1
	v_mul_hi_u32 v0, v2, s10
	v_add_u32_e32 v0, v0, v2
	v_lshrrev_b32_e32 v5, s11, v0
	v_mul_lo_u32 v0, v5, s9
	v_sub_u32_e32 v6, v2, v0
	v_mul_lo_u32 v0, v6, s20
	v_mul_lo_u32 v4, v6, s21
	s_andn2_b64 vcc, exec, s[34:35]
	v_mul_lo_u32 v6, v6, s15
	s_cbranch_vccnz .LBB17_2
; %bb.12:                               ;   in Loop: Header=BB17_3 Depth=1
	v_mul_hi_u32 v7, s8, v5
	v_add_u32_e32 v7, v5, v7
	v_lshrrev_b32_e32 v7, s14, v7
	v_mul_lo_u32 v7, v7, s12
	v_sub_u32_e32 v5, v5, v7
	v_mad_u64_u32 v[16:17], s[0:1], v5, s23, v[0:1]
	v_mad_u64_u32 v[6:7], s[0:1], v5, s30, v[6:7]
	v_mad_u64_u32 v[4:5], s[0:1], v5, s31, v[4:5]
	v_mov_b32_e32 v0, v16
	s_branch .LBB17_2
.LBB17_13:
	s_endpgm
	.section	.rodata,"a",@progbits
	.p2align	6, 0x0
	.amdhsa_kernel _ZN2at6native12cross_kernelIN3c107complexIfEE16OffsetCalculatorILi3EjLb0EEiEEviPT_PKS7_SA_T0_T1_SC_SC_
		.amdhsa_group_segment_fixed_size 0
		.amdhsa_private_segment_fixed_size 0
		.amdhsa_kernarg_size 688
		.amdhsa_user_sgpr_count 6
		.amdhsa_user_sgpr_private_segment_buffer 1
		.amdhsa_user_sgpr_dispatch_ptr 0
		.amdhsa_user_sgpr_queue_ptr 0
		.amdhsa_user_sgpr_kernarg_segment_ptr 1
		.amdhsa_user_sgpr_dispatch_id 0
		.amdhsa_user_sgpr_flat_scratch_init 0
		.amdhsa_user_sgpr_kernarg_preload_length 0
		.amdhsa_user_sgpr_kernarg_preload_offset 0
		.amdhsa_user_sgpr_private_segment_size 0
		.amdhsa_uses_dynamic_stack 0
		.amdhsa_system_sgpr_private_segment_wavefront_offset 0
		.amdhsa_system_sgpr_workgroup_id_x 1
		.amdhsa_system_sgpr_workgroup_id_y 0
		.amdhsa_system_sgpr_workgroup_id_z 0
		.amdhsa_system_sgpr_workgroup_info 0
		.amdhsa_system_vgpr_workitem_id 0
		.amdhsa_next_free_vgpr 38
		.amdhsa_next_free_sgpr 58
		.amdhsa_accum_offset 40
		.amdhsa_reserve_vcc 1
		.amdhsa_reserve_flat_scratch 0
		.amdhsa_float_round_mode_32 0
		.amdhsa_float_round_mode_16_64 0
		.amdhsa_float_denorm_mode_32 3
		.amdhsa_float_denorm_mode_16_64 3
		.amdhsa_dx10_clamp 1
		.amdhsa_ieee_mode 1
		.amdhsa_fp16_overflow 0
		.amdhsa_tg_split 0
		.amdhsa_exception_fp_ieee_invalid_op 0
		.amdhsa_exception_fp_denorm_src 0
		.amdhsa_exception_fp_ieee_div_zero 0
		.amdhsa_exception_fp_ieee_overflow 0
		.amdhsa_exception_fp_ieee_underflow 0
		.amdhsa_exception_fp_ieee_inexact 0
		.amdhsa_exception_int_div_zero 0
	.end_amdhsa_kernel
	.section	.text._ZN2at6native12cross_kernelIN3c107complexIfEE16OffsetCalculatorILi3EjLb0EEiEEviPT_PKS7_SA_T0_T1_SC_SC_,"axG",@progbits,_ZN2at6native12cross_kernelIN3c107complexIfEE16OffsetCalculatorILi3EjLb0EEiEEviPT_PKS7_SA_T0_T1_SC_SC_,comdat
.Lfunc_end17:
	.size	_ZN2at6native12cross_kernelIN3c107complexIfEE16OffsetCalculatorILi3EjLb0EEiEEviPT_PKS7_SA_T0_T1_SC_SC_, .Lfunc_end17-_ZN2at6native12cross_kernelIN3c107complexIfEE16OffsetCalculatorILi3EjLb0EEiEEviPT_PKS7_SA_T0_T1_SC_SC_
                                        ; -- End function
	.section	.AMDGPU.csdata,"",@progbits
; Kernel info:
; codeLenInByte = 1144
; NumSgprs: 62
; NumVgprs: 38
; NumAgprs: 0
; TotalNumVgprs: 38
; ScratchSize: 0
; MemoryBound: 0
; FloatMode: 240
; IeeeMode: 1
; LDSByteSize: 0 bytes/workgroup (compile time only)
; SGPRBlocks: 7
; VGPRBlocks: 4
; NumSGPRsForWavesPerEU: 62
; NumVGPRsForWavesPerEU: 38
; AccumOffset: 40
; Occupancy: 8
; WaveLimiterHint : 1
; COMPUTE_PGM_RSRC2:SCRATCH_EN: 0
; COMPUTE_PGM_RSRC2:USER_SGPR: 6
; COMPUTE_PGM_RSRC2:TRAP_HANDLER: 0
; COMPUTE_PGM_RSRC2:TGID_X_EN: 1
; COMPUTE_PGM_RSRC2:TGID_Y_EN: 0
; COMPUTE_PGM_RSRC2:TGID_Z_EN: 0
; COMPUTE_PGM_RSRC2:TIDIG_COMP_CNT: 0
; COMPUTE_PGM_RSRC3_GFX90A:ACCUM_OFFSET: 9
; COMPUTE_PGM_RSRC3_GFX90A:TG_SPLIT: 0
	.section	.text._ZN2at6native12cross_kernelIN3c104HalfE16OffsetCalculatorILi3EjLb0EElEEviPT_PKS6_S9_T0_T1_SB_SB_,"axG",@progbits,_ZN2at6native12cross_kernelIN3c104HalfE16OffsetCalculatorILi3EjLb0EElEEviPT_PKS6_S9_T0_T1_SB_SB_,comdat
	.protected	_ZN2at6native12cross_kernelIN3c104HalfE16OffsetCalculatorILi3EjLb0EElEEviPT_PKS6_S9_T0_T1_SB_SB_ ; -- Begin function _ZN2at6native12cross_kernelIN3c104HalfE16OffsetCalculatorILi3EjLb0EElEEviPT_PKS6_S9_T0_T1_SB_SB_
	.globl	_ZN2at6native12cross_kernelIN3c104HalfE16OffsetCalculatorILi3EjLb0EElEEviPT_PKS6_S9_T0_T1_SB_SB_
	.p2align	8
	.type	_ZN2at6native12cross_kernelIN3c104HalfE16OffsetCalculatorILi3EjLb0EElEEviPT_PKS6_S9_T0_T1_SB_SB_,@function
_ZN2at6native12cross_kernelIN3c104HalfE16OffsetCalculatorILi3EjLb0EElEEviPT_PKS6_S9_T0_T1_SB_SB_: ; @_ZN2at6native12cross_kernelIN3c104HalfE16OffsetCalculatorILi3EjLb0EElEEviPT_PKS6_S9_T0_T1_SB_SB_
; %bb.0:
	s_load_dword s24, s[4:5], 0x0
	s_load_dword s0, s[4:5], 0x1cc
	v_mov_b32_e32 v1, 0
	v_mov_b32_e32 v2, s6
	s_waitcnt lgkmcnt(0)
	s_ashr_i32 s25, s24, 31
	s_add_u32 s20, s4, 0x1c0
	s_addc_u32 s21, s5, 0
	s_and_b32 s33, s0, 0xffff
	v_mad_u64_u32 v[2:3], s[0:1], s33, v2, v[0:1]
	v_cmp_gt_i64_e32 vcc, s[24:25], v[2:3]
	s_and_saveexec_b64 s[0:1], vcc
	s_cbranch_execz .LBB18_13
; %bb.1:
	s_load_dwordx8 s[8:15], s[4:5], 0x20
	s_load_dwordx4 s[16:19], s[4:5], 0x8
	s_load_dwordx2 s[6:7], s[4:5], 0x18
	s_load_dwordx2 s[40:41], s[4:5], 0x1b8
	s_load_dwordx4 s[0:3], s[4:5], 0x1a8
	s_load_dword s38, s[20:21], 0x0
	s_waitcnt lgkmcnt(0)
	s_add_i32 s15, s8, -1
	s_load_dwordx4 s[20:23], s[4:5], 0xe4
	s_load_dwordx2 s[30:31], s[4:5], 0xf4
	s_cmp_gt_u32 s15, 1
	s_cselect_b64 s[26:27], -1, 0
	s_cmp_lg_u32 s8, 0
	s_cselect_b64 s[28:29], -1, 0
	s_min_u32 s39, s15, 15
	s_cmp_gt_u32 s8, 1
	s_waitcnt lgkmcnt(0)
	s_mov_b32 s15, s21
	s_mov_b32 s21, s22
	s_cselect_b64 s[34:35], -1, 0
	s_add_i32 s22, s39, 1
	s_lshl_b64 s[36:37], s[40:41], 2
	s_and_b32 s22, s22, 30
	s_bitcmp0_b32 s39, 0
	s_mov_b32 s8, s13
	s_mul_i32 s13, s38, s33
	s_cselect_b64 s[38:39], -1, 0
	s_lshl_b64 s[2:3], s[2:3], 1
	s_lshl_b64 s[42:43], s[40:41], 1
	s_sub_u32 s33, 0, s42
	s_subb_u32 s45, 0, s43
	s_lshl_b64 s[42:43], s[0:1], 1
	s_mov_b32 s44, 0
	s_add_u32 s4, s4, 12
	s_mov_b64 s[40:41], 0
	s_addc_u32 s5, s5, 0
	v_mov_b32_e32 v8, s17
	v_mov_b32_e32 v9, s19
	;; [unrolled: 1-line block ×8, first 2 shown]
	s_branch .LBB18_3
.LBB18_2:                               ;   in Loop: Header=BB18_3 Depth=1
	v_mov_b32_e32 v7, v1
	v_lshlrev_b64 v[6:7], 1, v[6:7]
	v_add_co_u32_e32 v6, vcc, s18, v6
	v_mov_b32_e32 v5, v1
	v_addc_co_u32_e32 v7, vcc, v9, v7, vcc
	v_lshlrev_b64 v[4:5], 1, v[4:5]
	v_add_co_u32_e32 v4, vcc, s6, v4
	v_addc_co_u32_e32 v5, vcc, v10, v5, vcc
	v_add_co_u32_e32 v16, vcc, s2, v6
	v_addc_co_u32_e32 v17, vcc, v7, v11, vcc
	;; [unrolled: 2-line block ×3, first 2 shown]
	global_load_ushort v20, v[16:17], off
	global_load_ushort v21, v[18:19], off
	v_add_co_u32_e32 v16, vcc, s2, v16
	v_addc_co_u32_e32 v17, vcc, v17, v11, vcc
	v_add_co_u32_e32 v18, vcc, s33, v18
	v_addc_co_u32_e32 v19, vcc, v19, v13, vcc
	global_load_ushort v22, v[16:17], off
	global_load_ushort v23, v[6:7], off
	;; [unrolled: 1-line block ×4, first 2 shown]
	v_add_co_u32_e32 v2, vcc, s13, v2
	v_lshlrev_b64 v[4:5], 1, v[0:1]
	v_addc_co_u32_e32 v3, vcc, v3, v15, vcc
	v_add_co_u32_e32 v4, vcc, s16, v4
	v_addc_co_u32_e32 v5, vcc, v8, v5, vcc
	v_cmp_le_i64_e32 vcc, s[24:25], v[2:3]
	v_add_co_u32_e64 v6, s[0:1], s42, v4
	v_addc_co_u32_e64 v7, s[0:1], v5, v14, s[0:1]
	s_or_b64 s[40:41], vcc, s[40:41]
	v_add_co_u32_e32 v16, vcc, s42, v6
	v_addc_co_u32_e32 v17, vcc, v7, v14, vcc
	s_waitcnt vmcnt(2)
	v_mul_f16_e32 v0, v21, v23
	s_waitcnt vmcnt(1)
	v_mul_f16_e32 v18, v20, v24
	;; [unrolled: 2-line block ×3, first 2 shown]
	v_fma_f16 v19, v20, v21, -v19
	v_fma_f16 v0, v22, v24, -v0
	;; [unrolled: 1-line block ×3, first 2 shown]
	global_store_short v[4:5], v19, off
	global_store_short v[6:7], v0, off
	;; [unrolled: 1-line block ×3, first 2 shown]
	s_andn2_b64 exec, exec, s[40:41]
	s_cbranch_execz .LBB18_13
.LBB18_3:                               ; =>This Loop Header: Depth=1
                                        ;     Child Loop BB18_6 Depth 2
	s_andn2_b64 vcc, exec, s[26:27]
	s_cbranch_vccnz .LBB18_10
; %bb.4:                                ;   in Loop: Header=BB18_3 Depth=1
	s_andn2_b64 vcc, exec, s[28:29]
	v_mov_b32_e32 v4, 0
	v_mov_b32_e32 v6, 0
	;; [unrolled: 1-line block ×3, first 2 shown]
	s_cbranch_vccnz .LBB18_9
; %bb.5:                                ;   in Loop: Header=BB18_3 Depth=1
	v_mov_b32_e32 v0, 0
	s_mov_b32 s3, s22
	s_mov_b64 s[0:1], s[4:5]
	v_mov_b32_e32 v5, v2
	v_mov_b32_e32 v6, v0
	;; [unrolled: 1-line block ×3, first 2 shown]
.LBB18_6:                               ;   Parent Loop BB18_3 Depth=1
                                        ; =>  This Inner Loop Header: Depth=2
	s_mov_b64 s[52:53], s[0:1]
	s_load_dwordx4 s[44:47], s[52:53], 0x18
	s_load_dwordx2 s[54:55], s[52:53], 0x28
	s_load_dwordx2 s[56:57], s[52:53], 0xe8
	s_load_dwordx4 s[48:51], s[52:53], 0xd8
	s_add_u32 s0, s52, 24
	s_waitcnt lgkmcnt(0)
	v_mul_hi_u32 v7, s45, v5
	v_add_u32_e32 v7, v5, v7
	v_lshrrev_b32_e32 v7, s46, v7
	v_mul_lo_u32 v16, v7, s44
	v_mul_hi_u32 v17, s54, v7
	v_sub_u32_e32 v5, v5, v16
	v_add_u32_e32 v16, v7, v17
	v_mul_lo_u32 v17, v5, s48
	v_mul_lo_u32 v18, v5, s49
	;; [unrolled: 1-line block ×3, first 2 shown]
	v_lshrrev_b32_e32 v5, s55, v16
	v_mul_lo_u32 v16, v5, s47
	v_sub_u32_e32 v7, v7, v16
	s_addc_u32 s1, s53, 0
	s_add_i32 s3, s3, -2
	v_mul_lo_u32 v16, v7, s51
	v_mul_lo_u32 v20, v7, s56
	;; [unrolled: 1-line block ×3, first 2 shown]
	s_cmp_lg_u32 s3, 0
	v_add3_u32 v0, v17, v0, v16
	v_add3_u32 v4, v19, v4, v7
	;; [unrolled: 1-line block ×3, first 2 shown]
	s_cbranch_scc1 .LBB18_6
; %bb.7:                                ;   in Loop: Header=BB18_3 Depth=1
	s_andn2_b64 vcc, exec, s[38:39]
	s_cbranch_vccnz .LBB18_9
; %bb.8:                                ;   in Loop: Header=BB18_3 Depth=1
	s_load_dwordx2 s[44:45], s[0:1], 0x18
	s_load_dword s3, s[0:1], 0x20
	s_load_dword s7, s[0:1], 0xe0
	s_load_dwordx2 s[46:47], s[0:1], 0xd8
	s_waitcnt lgkmcnt(0)
	v_mul_hi_u32 v7, s45, v5
	v_add_u32_e32 v7, v5, v7
	v_lshrrev_b32_e32 v7, s3, v7
	v_mul_lo_u32 v7, v7, s44
	v_sub_u32_e32 v5, v5, v7
	v_mad_u64_u32 v[16:17], s[0:1], v5, s46, v[0:1]
	v_mad_u64_u32 v[6:7], s[0:1], v5, s47, v[6:7]
	;; [unrolled: 1-line block ×3, first 2 shown]
	v_mov_b32_e32 v0, v16
.LBB18_9:                               ;   in Loop: Header=BB18_3 Depth=1
	s_cbranch_execnz .LBB18_2
	s_branch .LBB18_11
.LBB18_10:                              ;   in Loop: Header=BB18_3 Depth=1
                                        ; implicit-def: $vgpr4
                                        ; implicit-def: $vgpr6
.LBB18_11:                              ;   in Loop: Header=BB18_3 Depth=1
	v_mul_hi_u32 v0, v2, s10
	v_add_u32_e32 v0, v0, v2
	v_lshrrev_b32_e32 v5, s11, v0
	v_mul_lo_u32 v0, v5, s9
	v_sub_u32_e32 v6, v2, v0
	v_mul_lo_u32 v0, v6, s20
	v_mul_lo_u32 v4, v6, s21
	s_andn2_b64 vcc, exec, s[34:35]
	v_mul_lo_u32 v6, v6, s15
	s_cbranch_vccnz .LBB18_2
; %bb.12:                               ;   in Loop: Header=BB18_3 Depth=1
	v_mul_hi_u32 v7, s8, v5
	v_add_u32_e32 v7, v5, v7
	v_lshrrev_b32_e32 v7, s14, v7
	v_mul_lo_u32 v7, v7, s12
	v_sub_u32_e32 v5, v5, v7
	v_mad_u64_u32 v[16:17], s[0:1], v5, s23, v[0:1]
	v_mad_u64_u32 v[6:7], s[0:1], v5, s30, v[6:7]
	;; [unrolled: 1-line block ×3, first 2 shown]
	v_mov_b32_e32 v0, v16
	s_branch .LBB18_2
.LBB18_13:
	s_endpgm
	.section	.rodata,"a",@progbits
	.p2align	6, 0x0
	.amdhsa_kernel _ZN2at6native12cross_kernelIN3c104HalfE16OffsetCalculatorILi3EjLb0EElEEviPT_PKS6_S9_T0_T1_SB_SB_
		.amdhsa_group_segment_fixed_size 0
		.amdhsa_private_segment_fixed_size 0
		.amdhsa_kernarg_size 704
		.amdhsa_user_sgpr_count 6
		.amdhsa_user_sgpr_private_segment_buffer 1
		.amdhsa_user_sgpr_dispatch_ptr 0
		.amdhsa_user_sgpr_queue_ptr 0
		.amdhsa_user_sgpr_kernarg_segment_ptr 1
		.amdhsa_user_sgpr_dispatch_id 0
		.amdhsa_user_sgpr_flat_scratch_init 0
		.amdhsa_user_sgpr_kernarg_preload_length 0
		.amdhsa_user_sgpr_kernarg_preload_offset 0
		.amdhsa_user_sgpr_private_segment_size 0
		.amdhsa_uses_dynamic_stack 0
		.amdhsa_system_sgpr_private_segment_wavefront_offset 0
		.amdhsa_system_sgpr_workgroup_id_x 1
		.amdhsa_system_sgpr_workgroup_id_y 0
		.amdhsa_system_sgpr_workgroup_id_z 0
		.amdhsa_system_sgpr_workgroup_info 0
		.amdhsa_system_vgpr_workitem_id 0
		.amdhsa_next_free_vgpr 26
		.amdhsa_next_free_sgpr 58
		.amdhsa_accum_offset 28
		.amdhsa_reserve_vcc 1
		.amdhsa_reserve_flat_scratch 0
		.amdhsa_float_round_mode_32 0
		.amdhsa_float_round_mode_16_64 0
		.amdhsa_float_denorm_mode_32 3
		.amdhsa_float_denorm_mode_16_64 3
		.amdhsa_dx10_clamp 1
		.amdhsa_ieee_mode 1
		.amdhsa_fp16_overflow 0
		.amdhsa_tg_split 0
		.amdhsa_exception_fp_ieee_invalid_op 0
		.amdhsa_exception_fp_denorm_src 0
		.amdhsa_exception_fp_ieee_div_zero 0
		.amdhsa_exception_fp_ieee_overflow 0
		.amdhsa_exception_fp_ieee_underflow 0
		.amdhsa_exception_fp_ieee_inexact 0
		.amdhsa_exception_int_div_zero 0
	.end_amdhsa_kernel
	.section	.text._ZN2at6native12cross_kernelIN3c104HalfE16OffsetCalculatorILi3EjLb0EElEEviPT_PKS6_S9_T0_T1_SB_SB_,"axG",@progbits,_ZN2at6native12cross_kernelIN3c104HalfE16OffsetCalculatorILi3EjLb0EElEEviPT_PKS6_S9_T0_T1_SB_SB_,comdat
.Lfunc_end18:
	.size	_ZN2at6native12cross_kernelIN3c104HalfE16OffsetCalculatorILi3EjLb0EElEEviPT_PKS6_S9_T0_T1_SB_SB_, .Lfunc_end18-_ZN2at6native12cross_kernelIN3c104HalfE16OffsetCalculatorILi3EjLb0EElEEviPT_PKS6_S9_T0_T1_SB_SB_
                                        ; -- End function
	.section	.AMDGPU.csdata,"",@progbits
; Kernel info:
; codeLenInByte = 1012
; NumSgprs: 62
; NumVgprs: 26
; NumAgprs: 0
; TotalNumVgprs: 26
; ScratchSize: 0
; MemoryBound: 0
; FloatMode: 240
; IeeeMode: 1
; LDSByteSize: 0 bytes/workgroup (compile time only)
; SGPRBlocks: 7
; VGPRBlocks: 3
; NumSGPRsForWavesPerEU: 62
; NumVGPRsForWavesPerEU: 26
; AccumOffset: 28
; Occupancy: 8
; WaveLimiterHint : 1
; COMPUTE_PGM_RSRC2:SCRATCH_EN: 0
; COMPUTE_PGM_RSRC2:USER_SGPR: 6
; COMPUTE_PGM_RSRC2:TRAP_HANDLER: 0
; COMPUTE_PGM_RSRC2:TGID_X_EN: 1
; COMPUTE_PGM_RSRC2:TGID_Y_EN: 0
; COMPUTE_PGM_RSRC2:TGID_Z_EN: 0
; COMPUTE_PGM_RSRC2:TIDIG_COMP_CNT: 0
; COMPUTE_PGM_RSRC3_GFX90A:ACCUM_OFFSET: 6
; COMPUTE_PGM_RSRC3_GFX90A:TG_SPLIT: 0
	.section	.text._ZN2at6native12cross_kernelIN3c104HalfE16OffsetCalculatorILi3EjLb0EEiEEviPT_PKS6_S9_T0_T1_SB_SB_,"axG",@progbits,_ZN2at6native12cross_kernelIN3c104HalfE16OffsetCalculatorILi3EjLb0EEiEEviPT_PKS6_S9_T0_T1_SB_SB_,comdat
	.protected	_ZN2at6native12cross_kernelIN3c104HalfE16OffsetCalculatorILi3EjLb0EEiEEviPT_PKS6_S9_T0_T1_SB_SB_ ; -- Begin function _ZN2at6native12cross_kernelIN3c104HalfE16OffsetCalculatorILi3EjLb0EEiEEviPT_PKS6_S9_T0_T1_SB_SB_
	.globl	_ZN2at6native12cross_kernelIN3c104HalfE16OffsetCalculatorILi3EjLb0EEiEEviPT_PKS6_S9_T0_T1_SB_SB_
	.p2align	8
	.type	_ZN2at6native12cross_kernelIN3c104HalfE16OffsetCalculatorILi3EjLb0EEiEEviPT_PKS6_S9_T0_T1_SB_SB_,@function
_ZN2at6native12cross_kernelIN3c104HalfE16OffsetCalculatorILi3EjLb0EEiEEviPT_PKS6_S9_T0_T1_SB_SB_: ; @_ZN2at6native12cross_kernelIN3c104HalfE16OffsetCalculatorILi3EjLb0EEiEEviPT_PKS6_S9_T0_T1_SB_SB_
; %bb.0:
	s_load_dword s24, s[4:5], 0x0
	s_load_dword s0, s[4:5], 0x1bc
	v_mov_b32_e32 v1, 0
	v_mov_b32_e32 v2, s6
	s_waitcnt lgkmcnt(0)
	s_ashr_i32 s25, s24, 31
	s_add_u32 s20, s4, 0x1b0
	s_addc_u32 s21, s5, 0
	s_and_b32 s33, s0, 0xffff
	v_mad_u64_u32 v[2:3], s[0:1], s33, v2, v[0:1]
	v_cmp_gt_i64_e32 vcc, s[24:25], v[2:3]
	s_and_saveexec_b64 s[0:1], vcc
	s_cbranch_execz .LBB19_13
; %bb.1:
	s_load_dwordx8 s[8:15], s[4:5], 0x20
	s_load_dwordx4 s[16:19], s[4:5], 0x8
	s_load_dwordx2 s[6:7], s[4:5], 0x18
	s_load_dwordx4 s[0:3], s[4:5], 0x1a4
	s_waitcnt lgkmcnt(0)
	s_load_dword s3, s[20:21], 0x0
	s_add_i32 s15, s8, -1
                                        ; kill: killed $sgpr20 killed $sgpr21
	s_cmp_gt_u32 s15, 1
	s_load_dwordx4 s[20:23], s[4:5], 0xe4
	s_load_dwordx2 s[30:31], s[4:5], 0xf4
	s_cselect_b64 s[26:27], -1, 0
	s_cmp_lg_u32 s8, 0
	s_cselect_b64 s[28:29], -1, 0
	s_min_u32 s36, s15, 15
	s_cmp_gt_u32 s8, 1
	s_cselect_b64 s[34:35], -1, 0
	s_mov_b32 s8, s13
	s_lshl_b32 s42, s2, 1
	s_waitcnt lgkmcnt(0)
	s_mul_i32 s13, s3, s33
	s_add_i32 s3, s36, 1
	s_mov_b32 s15, s21
	s_mov_b32 s21, s22
	s_ashr_i32 s39, s1, 31
	s_mov_b32 s38, s1
	s_ashr_i32 s43, s42, 31
	s_ashr_i32 s1, s0, 31
	s_and_b32 s22, s3, 30
	s_bitcmp0_b32 s36, 0
	s_cselect_b64 s[36:37], -1, 0
	s_ashr_i32 s3, s2, 31
	s_lshl_b64 s[38:39], s[38:39], 1
	s_lshl_b64 s[40:41], s[2:3], 1
	s_sub_u32 s33, 0, s40
	s_subb_u32 s45, 0, s41
	s_lshl_b64 s[40:41], s[0:1], 1
	s_add_u32 s4, s4, 12
	s_mov_b32 s44, 0
	s_addc_u32 s5, s5, 0
	s_lshl_b64 s[42:43], s[42:43], 1
	s_mov_b64 s[2:3], 0
	v_mov_b32_e32 v8, s17
	v_mov_b32_e32 v9, s19
	;; [unrolled: 1-line block ×8, first 2 shown]
	s_branch .LBB19_3
.LBB19_2:                               ;   in Loop: Header=BB19_3 Depth=1
	v_mov_b32_e32 v7, v1
	v_lshlrev_b64 v[6:7], 1, v[6:7]
	v_add_co_u32_e32 v6, vcc, s18, v6
	v_mov_b32_e32 v5, v1
	v_addc_co_u32_e32 v7, vcc, v9, v7, vcc
	v_lshlrev_b64 v[4:5], 1, v[4:5]
	v_add_co_u32_e32 v4, vcc, s6, v4
	v_addc_co_u32_e32 v5, vcc, v10, v5, vcc
	v_add_co_u32_e32 v16, vcc, s38, v6
	v_addc_co_u32_e32 v17, vcc, v7, v11, vcc
	;; [unrolled: 2-line block ×3, first 2 shown]
	global_load_ushort v20, v[16:17], off
	global_load_ushort v21, v[18:19], off
	v_add_co_u32_e32 v16, vcc, s38, v16
	v_addc_co_u32_e32 v17, vcc, v17, v11, vcc
	v_add_co_u32_e32 v18, vcc, s33, v18
	v_addc_co_u32_e32 v19, vcc, v19, v13, vcc
	global_load_ushort v22, v[16:17], off
	global_load_ushort v23, v[6:7], off
	;; [unrolled: 1-line block ×4, first 2 shown]
	v_add_co_u32_e32 v2, vcc, s13, v2
	v_lshlrev_b64 v[4:5], 1, v[0:1]
	v_addc_co_u32_e32 v3, vcc, v3, v15, vcc
	v_add_co_u32_e32 v4, vcc, s16, v4
	v_addc_co_u32_e32 v5, vcc, v8, v5, vcc
	v_cmp_le_i64_e32 vcc, s[24:25], v[2:3]
	v_add_co_u32_e64 v6, s[0:1], s40, v4
	v_addc_co_u32_e64 v7, s[0:1], v5, v14, s[0:1]
	s_or_b64 s[2:3], vcc, s[2:3]
	v_add_co_u32_e32 v16, vcc, s40, v6
	v_addc_co_u32_e32 v17, vcc, v7, v14, vcc
	s_waitcnt vmcnt(2)
	v_mul_f16_e32 v0, v21, v23
	s_waitcnt vmcnt(1)
	v_mul_f16_e32 v18, v20, v24
	;; [unrolled: 2-line block ×3, first 2 shown]
	v_fma_f16 v19, v20, v21, -v19
	v_fma_f16 v0, v22, v24, -v0
	;; [unrolled: 1-line block ×3, first 2 shown]
	global_store_short v[4:5], v19, off
	global_store_short v[6:7], v0, off
	;; [unrolled: 1-line block ×3, first 2 shown]
	s_andn2_b64 exec, exec, s[2:3]
	s_cbranch_execz .LBB19_13
.LBB19_3:                               ; =>This Loop Header: Depth=1
                                        ;     Child Loop BB19_6 Depth 2
	s_andn2_b64 vcc, exec, s[26:27]
	s_cbranch_vccnz .LBB19_10
; %bb.4:                                ;   in Loop: Header=BB19_3 Depth=1
	s_andn2_b64 vcc, exec, s[28:29]
	v_mov_b32_e32 v4, 0
	v_mov_b32_e32 v6, 0
	v_mov_b32_e32 v0, 0
	s_cbranch_vccnz .LBB19_9
; %bb.5:                                ;   in Loop: Header=BB19_3 Depth=1
	v_mov_b32_e32 v0, 0
	s_mov_b32 s7, s22
	s_mov_b64 s[0:1], s[4:5]
	v_mov_b32_e32 v5, v2
	v_mov_b32_e32 v6, v0
	;; [unrolled: 1-line block ×3, first 2 shown]
.LBB19_6:                               ;   Parent Loop BB19_3 Depth=1
                                        ; =>  This Inner Loop Header: Depth=2
	s_mov_b64 s[52:53], s[0:1]
	s_load_dwordx4 s[44:47], s[52:53], 0x18
	s_load_dwordx2 s[54:55], s[52:53], 0x28
	s_load_dwordx2 s[56:57], s[52:53], 0xe8
	s_load_dwordx4 s[48:51], s[52:53], 0xd8
	s_add_u32 s0, s52, 24
	s_waitcnt lgkmcnt(0)
	v_mul_hi_u32 v7, s45, v5
	v_add_u32_e32 v7, v5, v7
	v_lshrrev_b32_e32 v7, s46, v7
	v_mul_lo_u32 v16, v7, s44
	v_mul_hi_u32 v17, s54, v7
	v_sub_u32_e32 v5, v5, v16
	v_add_u32_e32 v16, v7, v17
	v_mul_lo_u32 v17, v5, s48
	v_mul_lo_u32 v18, v5, s49
	;; [unrolled: 1-line block ×3, first 2 shown]
	v_lshrrev_b32_e32 v5, s55, v16
	v_mul_lo_u32 v16, v5, s47
	v_sub_u32_e32 v7, v7, v16
	s_addc_u32 s1, s53, 0
	s_add_i32 s7, s7, -2
	v_mul_lo_u32 v16, v7, s51
	v_mul_lo_u32 v20, v7, s56
	;; [unrolled: 1-line block ×3, first 2 shown]
	s_cmp_lg_u32 s7, 0
	v_add3_u32 v0, v17, v0, v16
	v_add3_u32 v4, v19, v4, v7
	;; [unrolled: 1-line block ×3, first 2 shown]
	s_cbranch_scc1 .LBB19_6
; %bb.7:                                ;   in Loop: Header=BB19_3 Depth=1
	s_andn2_b64 vcc, exec, s[36:37]
	s_cbranch_vccnz .LBB19_9
; %bb.8:                                ;   in Loop: Header=BB19_3 Depth=1
	s_load_dwordx2 s[44:45], s[0:1], 0x18
	s_load_dword s7, s[0:1], 0x20
	s_load_dword s17, s[0:1], 0xe0
	s_load_dwordx2 s[46:47], s[0:1], 0xd8
	s_waitcnt lgkmcnt(0)
	v_mul_hi_u32 v7, s45, v5
	v_add_u32_e32 v7, v5, v7
	v_lshrrev_b32_e32 v7, s7, v7
	v_mul_lo_u32 v7, v7, s44
	v_sub_u32_e32 v5, v5, v7
	v_mad_u64_u32 v[16:17], s[0:1], v5, s46, v[0:1]
	v_mad_u64_u32 v[6:7], s[0:1], v5, s47, v[6:7]
	;; [unrolled: 1-line block ×3, first 2 shown]
	v_mov_b32_e32 v0, v16
.LBB19_9:                               ;   in Loop: Header=BB19_3 Depth=1
	s_cbranch_execnz .LBB19_2
	s_branch .LBB19_11
.LBB19_10:                              ;   in Loop: Header=BB19_3 Depth=1
                                        ; implicit-def: $vgpr4
                                        ; implicit-def: $vgpr6
.LBB19_11:                              ;   in Loop: Header=BB19_3 Depth=1
	v_mul_hi_u32 v0, v2, s10
	v_add_u32_e32 v0, v0, v2
	v_lshrrev_b32_e32 v5, s11, v0
	v_mul_lo_u32 v0, v5, s9
	v_sub_u32_e32 v6, v2, v0
	v_mul_lo_u32 v0, v6, s20
	v_mul_lo_u32 v4, v6, s21
	s_andn2_b64 vcc, exec, s[34:35]
	v_mul_lo_u32 v6, v6, s15
	s_cbranch_vccnz .LBB19_2
; %bb.12:                               ;   in Loop: Header=BB19_3 Depth=1
	v_mul_hi_u32 v7, s8, v5
	v_add_u32_e32 v7, v5, v7
	v_lshrrev_b32_e32 v7, s14, v7
	v_mul_lo_u32 v7, v7, s12
	v_sub_u32_e32 v5, v5, v7
	v_mad_u64_u32 v[16:17], s[0:1], v5, s23, v[0:1]
	v_mad_u64_u32 v[6:7], s[0:1], v5, s30, v[6:7]
	;; [unrolled: 1-line block ×3, first 2 shown]
	v_mov_b32_e32 v0, v16
	s_branch .LBB19_2
.LBB19_13:
	s_endpgm
	.section	.rodata,"a",@progbits
	.p2align	6, 0x0
	.amdhsa_kernel _ZN2at6native12cross_kernelIN3c104HalfE16OffsetCalculatorILi3EjLb0EEiEEviPT_PKS6_S9_T0_T1_SB_SB_
		.amdhsa_group_segment_fixed_size 0
		.amdhsa_private_segment_fixed_size 0
		.amdhsa_kernarg_size 688
		.amdhsa_user_sgpr_count 6
		.amdhsa_user_sgpr_private_segment_buffer 1
		.amdhsa_user_sgpr_dispatch_ptr 0
		.amdhsa_user_sgpr_queue_ptr 0
		.amdhsa_user_sgpr_kernarg_segment_ptr 1
		.amdhsa_user_sgpr_dispatch_id 0
		.amdhsa_user_sgpr_flat_scratch_init 0
		.amdhsa_user_sgpr_kernarg_preload_length 0
		.amdhsa_user_sgpr_kernarg_preload_offset 0
		.amdhsa_user_sgpr_private_segment_size 0
		.amdhsa_uses_dynamic_stack 0
		.amdhsa_system_sgpr_private_segment_wavefront_offset 0
		.amdhsa_system_sgpr_workgroup_id_x 1
		.amdhsa_system_sgpr_workgroup_id_y 0
		.amdhsa_system_sgpr_workgroup_id_z 0
		.amdhsa_system_sgpr_workgroup_info 0
		.amdhsa_system_vgpr_workitem_id 0
		.amdhsa_next_free_vgpr 26
		.amdhsa_next_free_sgpr 58
		.amdhsa_accum_offset 28
		.amdhsa_reserve_vcc 1
		.amdhsa_reserve_flat_scratch 0
		.amdhsa_float_round_mode_32 0
		.amdhsa_float_round_mode_16_64 0
		.amdhsa_float_denorm_mode_32 3
		.amdhsa_float_denorm_mode_16_64 3
		.amdhsa_dx10_clamp 1
		.amdhsa_ieee_mode 1
		.amdhsa_fp16_overflow 0
		.amdhsa_tg_split 0
		.amdhsa_exception_fp_ieee_invalid_op 0
		.amdhsa_exception_fp_denorm_src 0
		.amdhsa_exception_fp_ieee_div_zero 0
		.amdhsa_exception_fp_ieee_overflow 0
		.amdhsa_exception_fp_ieee_underflow 0
		.amdhsa_exception_fp_ieee_inexact 0
		.amdhsa_exception_int_div_zero 0
	.end_amdhsa_kernel
	.section	.text._ZN2at6native12cross_kernelIN3c104HalfE16OffsetCalculatorILi3EjLb0EEiEEviPT_PKS6_S9_T0_T1_SB_SB_,"axG",@progbits,_ZN2at6native12cross_kernelIN3c104HalfE16OffsetCalculatorILi3EjLb0EEiEEviPT_PKS6_S9_T0_T1_SB_SB_,comdat
.Lfunc_end19:
	.size	_ZN2at6native12cross_kernelIN3c104HalfE16OffsetCalculatorILi3EjLb0EEiEEviPT_PKS6_S9_T0_T1_SB_SB_, .Lfunc_end19-_ZN2at6native12cross_kernelIN3c104HalfE16OffsetCalculatorILi3EjLb0EEiEEviPT_PKS6_S9_T0_T1_SB_SB_
                                        ; -- End function
	.section	.AMDGPU.csdata,"",@progbits
; Kernel info:
; codeLenInByte = 1028
; NumSgprs: 62
; NumVgprs: 26
; NumAgprs: 0
; TotalNumVgprs: 26
; ScratchSize: 0
; MemoryBound: 0
; FloatMode: 240
; IeeeMode: 1
; LDSByteSize: 0 bytes/workgroup (compile time only)
; SGPRBlocks: 7
; VGPRBlocks: 3
; NumSGPRsForWavesPerEU: 62
; NumVGPRsForWavesPerEU: 26
; AccumOffset: 28
; Occupancy: 8
; WaveLimiterHint : 1
; COMPUTE_PGM_RSRC2:SCRATCH_EN: 0
; COMPUTE_PGM_RSRC2:USER_SGPR: 6
; COMPUTE_PGM_RSRC2:TRAP_HANDLER: 0
; COMPUTE_PGM_RSRC2:TGID_X_EN: 1
; COMPUTE_PGM_RSRC2:TGID_Y_EN: 0
; COMPUTE_PGM_RSRC2:TGID_Z_EN: 0
; COMPUTE_PGM_RSRC2:TIDIG_COMP_CNT: 0
; COMPUTE_PGM_RSRC3_GFX90A:ACCUM_OFFSET: 6
; COMPUTE_PGM_RSRC3_GFX90A:TG_SPLIT: 0
	.section	.text._ZN2at6native12cross_kernelIN3c108BFloat16E16OffsetCalculatorILi3EjLb0EElEEviPT_PKS6_S9_T0_T1_SB_SB_,"axG",@progbits,_ZN2at6native12cross_kernelIN3c108BFloat16E16OffsetCalculatorILi3EjLb0EElEEviPT_PKS6_S9_T0_T1_SB_SB_,comdat
	.protected	_ZN2at6native12cross_kernelIN3c108BFloat16E16OffsetCalculatorILi3EjLb0EElEEviPT_PKS6_S9_T0_T1_SB_SB_ ; -- Begin function _ZN2at6native12cross_kernelIN3c108BFloat16E16OffsetCalculatorILi3EjLb0EElEEviPT_PKS6_S9_T0_T1_SB_SB_
	.globl	_ZN2at6native12cross_kernelIN3c108BFloat16E16OffsetCalculatorILi3EjLb0EElEEviPT_PKS6_S9_T0_T1_SB_SB_
	.p2align	8
	.type	_ZN2at6native12cross_kernelIN3c108BFloat16E16OffsetCalculatorILi3EjLb0EElEEviPT_PKS6_S9_T0_T1_SB_SB_,@function
_ZN2at6native12cross_kernelIN3c108BFloat16E16OffsetCalculatorILi3EjLb0EElEEviPT_PKS6_S9_T0_T1_SB_SB_: ; @_ZN2at6native12cross_kernelIN3c108BFloat16E16OffsetCalculatorILi3EjLb0EElEEviPT_PKS6_S9_T0_T1_SB_SB_
; %bb.0:
	s_load_dword s24, s[4:5], 0x0
	s_load_dword s0, s[4:5], 0x1cc
	v_mov_b32_e32 v1, 0
	v_mov_b32_e32 v2, s6
	s_waitcnt lgkmcnt(0)
	s_ashr_i32 s25, s24, 31
	s_add_u32 s16, s4, 0x1c0
	s_addc_u32 s17, s5, 0
	s_and_b32 s33, s0, 0xffff
	v_mad_u64_u32 v[2:3], s[0:1], s33, v2, v[0:1]
	v_cmp_gt_i64_e32 vcc, s[24:25], v[2:3]
	s_and_saveexec_b64 s[0:1], vcc
	s_cbranch_execz .LBB20_13
; %bb.1:
	s_load_dwordx8 s[8:15], s[4:5], 0x20
	s_load_dwordx4 s[0:3], s[4:5], 0x8
	s_load_dwordx2 s[6:7], s[4:5], 0x18
	s_load_dwordx2 s[40:41], s[4:5], 0x1b8
	s_load_dwordx4 s[20:23], s[4:5], 0x1a8
	s_load_dword s38, s[16:17], 0x0
	s_waitcnt lgkmcnt(0)
	s_add_i32 s15, s8, -1
	s_load_dwordx4 s[16:19], s[4:5], 0xe4
	s_load_dwordx2 s[30:31], s[4:5], 0xf4
	s_cmp_gt_u32 s15, 1
	s_cselect_b64 s[26:27], -1, 0
	s_cmp_lg_u32 s8, 0
	s_cselect_b64 s[28:29], -1, 0
	s_min_u32 s39, s15, 15
	s_cmp_gt_u32 s8, 1
	s_waitcnt lgkmcnt(0)
	s_mov_b32 s15, s17
	s_mov_b32 s17, s18
	s_cselect_b64 s[34:35], -1, 0
	s_add_i32 s18, s39, 1
	s_lshl_b64 s[36:37], s[40:41], 2
	s_and_b32 s18, s18, 30
	s_bitcmp0_b32 s39, 0
	s_mov_b32 s8, s13
	s_mul_i32 s13, s38, s33
	s_cselect_b64 s[38:39], -1, 0
	s_lshl_b64 s[22:23], s[22:23], 1
	s_lshl_b64 s[42:43], s[40:41], 1
	s_sub_u32 s33, 0, s42
	s_subb_u32 s42, 0, s43
	s_lshl_b64 s[20:21], s[20:21], 1
	s_mov_b32 s44, 0
	s_add_u32 s4, s4, 12
	s_mov_b64 s[40:41], 0
	s_addc_u32 s5, s5, 0
	v_mov_b32_e32 v8, s1
	v_mov_b32_e32 v9, s3
	;; [unrolled: 1-line block ×5, first 2 shown]
	s_movk_i32 s1, 0x7fff
	v_mov_b32_e32 v13, s42
	v_mov_b32_e32 v14, 0x7fc00000
	;; [unrolled: 1-line block ×5, first 2 shown]
	s_branch .LBB20_3
.LBB20_2:                               ;   in Loop: Header=BB20_3 Depth=1
	v_mov_b32_e32 v7, v1
	v_lshlrev_b64 v[6:7], 1, v[6:7]
	v_add_co_u32_e32 v6, vcc, s2, v6
	v_mov_b32_e32 v5, v1
	v_addc_co_u32_e32 v7, vcc, v9, v7, vcc
	v_lshlrev_b64 v[4:5], 1, v[4:5]
	v_add_co_u32_e32 v4, vcc, s6, v4
	v_addc_co_u32_e32 v5, vcc, v10, v5, vcc
	v_add_co_u32_e32 v18, vcc, s22, v6
	v_addc_co_u32_e32 v19, vcc, v7, v11, vcc
	;; [unrolled: 2-line block ×4, first 2 shown]
	global_load_ushort v24, v[18:19], off
	global_load_ushort v25, v[22:23], off
	;; [unrolled: 1-line block ×5, first 2 shown]
	v_add_co_u32_e32 v4, vcc, s22, v18
	v_addc_co_u32_e32 v5, vcc, v19, v11, vcc
	global_load_ushort v21, v[4:5], off
	v_lshlrev_b64 v[4:5], 1, v[0:1]
	v_add_co_u32_e32 v4, vcc, s0, v4
	v_addc_co_u32_e32 v5, vcc, v8, v5, vcc
	s_waitcnt vmcnt(5)
	v_lshlrev_b32_e32 v19, 16, v24
	s_waitcnt vmcnt(4)
	v_lshlrev_b32_e32 v18, 16, v25
	;; [unrolled: 2-line block ×5, first 2 shown]
	v_mov_b32_e32 v22, v19
	v_mov_b32_e32 v23, v18
	s_waitcnt vmcnt(0)
	v_lshlrev_b32_e32 v21, 16, v21
	v_pk_mul_f32 v[24:25], v[20:21], v[6:7]
	v_pk_mul_f32 v[6:7], v[18:19], v[6:7]
	;; [unrolled: 1-line block ×3, first 2 shown]
	v_bfe_u32 v20, v24, 16, 1
	v_bfe_u32 v0, v25, 16, 1
	v_add3_u32 v20, v24, v20, s1
	v_bfe_u32 v22, v7, 16, 1
	v_add3_u32 v0, v25, v0, s1
	v_and_b32_e32 v20, 0xffff0000, v20
	v_cmp_o_f32_e32 vcc, v24, v24
	v_bfe_u32 v21, v6, 16, 1
	v_add3_u32 v22, v7, v22, s1
	v_and_b32_e32 v0, 0xffff0000, v0
	v_cndmask_b32_e32 v20, v14, v20, vcc
	v_cmp_o_f32_e32 vcc, v25, v25
	v_bfe_u32 v26, v19, 16, 1
	v_add3_u32 v21, v6, v21, s1
	v_and_b32_e32 v22, 0xffff0000, v22
	v_cndmask_b32_e32 v0, v14, v0, vcc
	;; [unrolled: 5-line block ×3, first 2 shown]
	v_cmp_o_f32_e32 vcc, v6, v6
	v_add3_u32 v23, v18, v23, s1
	v_and_b32_e32 v26, 0xffff0000, v26
	v_cndmask_b32_e32 v6, v14, v21, vcc
	v_cmp_o_f32_e32 vcc, v19, v19
	v_and_b32_e32 v23, 0xffff0000, v23
	v_cndmask_b32_e32 v19, v14, v26, vcc
	v_cmp_o_f32_e32 vcc, v18, v18
	v_cndmask_b32_e32 v18, v14, v23, vcc
	v_sub_f32_e32 v0, v0, v20
	v_sub_f32_e32 v6, v6, v7
	;; [unrolled: 1-line block ×3, first 2 shown]
	v_bfe_u32 v18, v0, 16, 1
	v_bfe_u32 v20, v7, 16, 1
	v_add3_u32 v18, v0, v18, s1
	v_bfe_u32 v19, v6, 16, 1
	v_add3_u32 v20, v7, v20, s1
	v_lshrrev_b32_e32 v18, 16, v18
	v_cmp_o_f32_e32 vcc, v0, v0
	v_add3_u32 v19, v6, v19, s1
	v_lshrrev_b32_e32 v20, 16, v20
	v_cndmask_b32_e32 v0, v15, v18, vcc
	v_cmp_o_f32_e32 vcc, v7, v7
	v_lshrrev_b32_e32 v19, 16, v19
	v_cndmask_b32_e32 v7, v15, v20, vcc
	v_cmp_o_f32_e32 vcc, v6, v6
	v_cndmask_b32_e32 v6, v15, v19, vcc
	global_store_short v[4:5], v7, off
	v_add_co_u32_e32 v4, vcc, s20, v4
	v_addc_co_u32_e32 v5, vcc, v5, v16, vcc
	global_store_short v[4:5], v0, off
	v_add_co_u32_e32 v4, vcc, s20, v4
	v_addc_co_u32_e32 v5, vcc, v5, v16, vcc
	v_add_co_u32_e32 v2, vcc, s13, v2
	v_addc_co_u32_e32 v3, vcc, v3, v17, vcc
	v_cmp_le_i64_e32 vcc, s[24:25], v[2:3]
	s_or_b64 s[40:41], vcc, s[40:41]
	global_store_short v[4:5], v6, off
	s_andn2_b64 exec, exec, s[40:41]
	s_cbranch_execz .LBB20_13
.LBB20_3:                               ; =>This Loop Header: Depth=1
                                        ;     Child Loop BB20_6 Depth 2
	s_andn2_b64 vcc, exec, s[26:27]
	s_cbranch_vccnz .LBB20_10
; %bb.4:                                ;   in Loop: Header=BB20_3 Depth=1
	s_andn2_b64 vcc, exec, s[28:29]
	v_mov_b32_e32 v4, 0
	v_mov_b32_e32 v6, 0
	v_mov_b32_e32 v0, 0
	s_cbranch_vccnz .LBB20_9
; %bb.5:                                ;   in Loop: Header=BB20_3 Depth=1
	v_mov_b32_e32 v0, 0
	s_mov_b32 s3, s18
	s_mov_b64 s[42:43], s[4:5]
	v_mov_b32_e32 v5, v2
	v_mov_b32_e32 v6, v0
	;; [unrolled: 1-line block ×3, first 2 shown]
.LBB20_6:                               ;   Parent Loop BB20_3 Depth=1
                                        ; =>  This Inner Loop Header: Depth=2
	s_mov_b64 s[52:53], s[42:43]
	s_load_dwordx4 s[44:47], s[52:53], 0x18
	s_load_dwordx2 s[54:55], s[52:53], 0x28
	s_load_dwordx2 s[56:57], s[52:53], 0xe8
	s_load_dwordx4 s[48:51], s[52:53], 0xd8
	s_add_u32 s42, s52, 24
	s_waitcnt lgkmcnt(0)
	v_mul_hi_u32 v7, s45, v5
	v_add_u32_e32 v7, v5, v7
	v_lshrrev_b32_e32 v7, s46, v7
	v_mul_lo_u32 v18, v7, s44
	v_mul_hi_u32 v19, s54, v7
	v_sub_u32_e32 v5, v5, v18
	v_add_u32_e32 v18, v7, v19
	v_mul_lo_u32 v19, v5, s48
	v_mul_lo_u32 v20, v5, s49
	v_mul_lo_u32 v21, v5, s50
	v_lshrrev_b32_e32 v5, s55, v18
	v_mul_lo_u32 v18, v5, s47
	v_sub_u32_e32 v7, v7, v18
	s_addc_u32 s43, s53, 0
	s_add_i32 s3, s3, -2
	v_mul_lo_u32 v18, v7, s51
	v_mul_lo_u32 v22, v7, s56
	;; [unrolled: 1-line block ×3, first 2 shown]
	s_cmp_lg_u32 s3, 0
	v_add3_u32 v0, v19, v0, v18
	v_add3_u32 v4, v21, v4, v7
	;; [unrolled: 1-line block ×3, first 2 shown]
	s_cbranch_scc1 .LBB20_6
; %bb.7:                                ;   in Loop: Header=BB20_3 Depth=1
	s_andn2_b64 vcc, exec, s[38:39]
	s_cbranch_vccnz .LBB20_9
; %bb.8:                                ;   in Loop: Header=BB20_3 Depth=1
	s_load_dwordx2 s[44:45], s[42:43], 0x18
	s_load_dword s3, s[42:43], 0x20
	s_load_dword s7, s[42:43], 0xe0
	s_load_dwordx2 s[46:47], s[42:43], 0xd8
	s_waitcnt lgkmcnt(0)
	v_mul_hi_u32 v7, s45, v5
	v_add_u32_e32 v7, v5, v7
	v_lshrrev_b32_e32 v7, s3, v7
	v_mul_lo_u32 v7, v7, s44
	v_sub_u32_e32 v5, v5, v7
	v_mad_u64_u32 v[18:19], s[42:43], v5, s46, v[0:1]
	v_mad_u64_u32 v[6:7], s[42:43], v5, s47, v[6:7]
	;; [unrolled: 1-line block ×3, first 2 shown]
	v_mov_b32_e32 v0, v18
.LBB20_9:                               ;   in Loop: Header=BB20_3 Depth=1
	s_cbranch_execnz .LBB20_2
	s_branch .LBB20_11
.LBB20_10:                              ;   in Loop: Header=BB20_3 Depth=1
                                        ; implicit-def: $vgpr4
                                        ; implicit-def: $vgpr6
.LBB20_11:                              ;   in Loop: Header=BB20_3 Depth=1
	v_mul_hi_u32 v0, v2, s10
	v_add_u32_e32 v0, v0, v2
	v_lshrrev_b32_e32 v5, s11, v0
	v_mul_lo_u32 v0, v5, s9
	v_sub_u32_e32 v6, v2, v0
	v_mul_lo_u32 v0, v6, s16
	v_mul_lo_u32 v4, v6, s17
	s_andn2_b64 vcc, exec, s[34:35]
	v_mul_lo_u32 v6, v6, s15
	s_cbranch_vccnz .LBB20_2
; %bb.12:                               ;   in Loop: Header=BB20_3 Depth=1
	v_mul_hi_u32 v7, s8, v5
	v_add_u32_e32 v7, v5, v7
	v_lshrrev_b32_e32 v7, s14, v7
	v_mul_lo_u32 v7, v7, s12
	v_sub_u32_e32 v5, v5, v7
	v_mad_u64_u32 v[18:19], s[42:43], v5, s19, v[0:1]
	v_mad_u64_u32 v[6:7], s[42:43], v5, s30, v[6:7]
	;; [unrolled: 1-line block ×3, first 2 shown]
	v_mov_b32_e32 v0, v18
	s_branch .LBB20_2
.LBB20_13:
	s_endpgm
	.section	.rodata,"a",@progbits
	.p2align	6, 0x0
	.amdhsa_kernel _ZN2at6native12cross_kernelIN3c108BFloat16E16OffsetCalculatorILi3EjLb0EElEEviPT_PKS6_S9_T0_T1_SB_SB_
		.amdhsa_group_segment_fixed_size 0
		.amdhsa_private_segment_fixed_size 0
		.amdhsa_kernarg_size 704
		.amdhsa_user_sgpr_count 6
		.amdhsa_user_sgpr_private_segment_buffer 1
		.amdhsa_user_sgpr_dispatch_ptr 0
		.amdhsa_user_sgpr_queue_ptr 0
		.amdhsa_user_sgpr_kernarg_segment_ptr 1
		.amdhsa_user_sgpr_dispatch_id 0
		.amdhsa_user_sgpr_flat_scratch_init 0
		.amdhsa_user_sgpr_kernarg_preload_length 0
		.amdhsa_user_sgpr_kernarg_preload_offset 0
		.amdhsa_user_sgpr_private_segment_size 0
		.amdhsa_uses_dynamic_stack 0
		.amdhsa_system_sgpr_private_segment_wavefront_offset 0
		.amdhsa_system_sgpr_workgroup_id_x 1
		.amdhsa_system_sgpr_workgroup_id_y 0
		.amdhsa_system_sgpr_workgroup_id_z 0
		.amdhsa_system_sgpr_workgroup_info 0
		.amdhsa_system_vgpr_workitem_id 0
		.amdhsa_next_free_vgpr 29
		.amdhsa_next_free_sgpr 58
		.amdhsa_accum_offset 32
		.amdhsa_reserve_vcc 1
		.amdhsa_reserve_flat_scratch 0
		.amdhsa_float_round_mode_32 0
		.amdhsa_float_round_mode_16_64 0
		.amdhsa_float_denorm_mode_32 3
		.amdhsa_float_denorm_mode_16_64 3
		.amdhsa_dx10_clamp 1
		.amdhsa_ieee_mode 1
		.amdhsa_fp16_overflow 0
		.amdhsa_tg_split 0
		.amdhsa_exception_fp_ieee_invalid_op 0
		.amdhsa_exception_fp_denorm_src 0
		.amdhsa_exception_fp_ieee_div_zero 0
		.amdhsa_exception_fp_ieee_overflow 0
		.amdhsa_exception_fp_ieee_underflow 0
		.amdhsa_exception_fp_ieee_inexact 0
		.amdhsa_exception_int_div_zero 0
	.end_amdhsa_kernel
	.section	.text._ZN2at6native12cross_kernelIN3c108BFloat16E16OffsetCalculatorILi3EjLb0EElEEviPT_PKS6_S9_T0_T1_SB_SB_,"axG",@progbits,_ZN2at6native12cross_kernelIN3c108BFloat16E16OffsetCalculatorILi3EjLb0EElEEviPT_PKS6_S9_T0_T1_SB_SB_,comdat
.Lfunc_end20:
	.size	_ZN2at6native12cross_kernelIN3c108BFloat16E16OffsetCalculatorILi3EjLb0EElEEviPT_PKS6_S9_T0_T1_SB_SB_, .Lfunc_end20-_ZN2at6native12cross_kernelIN3c108BFloat16E16OffsetCalculatorILi3EjLb0EElEEviPT_PKS6_S9_T0_T1_SB_SB_
                                        ; -- End function
	.section	.AMDGPU.csdata,"",@progbits
; Kernel info:
; codeLenInByte = 1344
; NumSgprs: 62
; NumVgprs: 29
; NumAgprs: 0
; TotalNumVgprs: 29
; ScratchSize: 0
; MemoryBound: 0
; FloatMode: 240
; IeeeMode: 1
; LDSByteSize: 0 bytes/workgroup (compile time only)
; SGPRBlocks: 7
; VGPRBlocks: 3
; NumSGPRsForWavesPerEU: 62
; NumVGPRsForWavesPerEU: 29
; AccumOffset: 32
; Occupancy: 8
; WaveLimiterHint : 1
; COMPUTE_PGM_RSRC2:SCRATCH_EN: 0
; COMPUTE_PGM_RSRC2:USER_SGPR: 6
; COMPUTE_PGM_RSRC2:TRAP_HANDLER: 0
; COMPUTE_PGM_RSRC2:TGID_X_EN: 1
; COMPUTE_PGM_RSRC2:TGID_Y_EN: 0
; COMPUTE_PGM_RSRC2:TGID_Z_EN: 0
; COMPUTE_PGM_RSRC2:TIDIG_COMP_CNT: 0
; COMPUTE_PGM_RSRC3_GFX90A:ACCUM_OFFSET: 7
; COMPUTE_PGM_RSRC3_GFX90A:TG_SPLIT: 0
	.section	.text._ZN2at6native12cross_kernelIN3c108BFloat16E16OffsetCalculatorILi3EjLb0EEiEEviPT_PKS6_S9_T0_T1_SB_SB_,"axG",@progbits,_ZN2at6native12cross_kernelIN3c108BFloat16E16OffsetCalculatorILi3EjLb0EEiEEviPT_PKS6_S9_T0_T1_SB_SB_,comdat
	.protected	_ZN2at6native12cross_kernelIN3c108BFloat16E16OffsetCalculatorILi3EjLb0EEiEEviPT_PKS6_S9_T0_T1_SB_SB_ ; -- Begin function _ZN2at6native12cross_kernelIN3c108BFloat16E16OffsetCalculatorILi3EjLb0EEiEEviPT_PKS6_S9_T0_T1_SB_SB_
	.globl	_ZN2at6native12cross_kernelIN3c108BFloat16E16OffsetCalculatorILi3EjLb0EEiEEviPT_PKS6_S9_T0_T1_SB_SB_
	.p2align	8
	.type	_ZN2at6native12cross_kernelIN3c108BFloat16E16OffsetCalculatorILi3EjLb0EEiEEviPT_PKS6_S9_T0_T1_SB_SB_,@function
_ZN2at6native12cross_kernelIN3c108BFloat16E16OffsetCalculatorILi3EjLb0EEiEEviPT_PKS6_S9_T0_T1_SB_SB_: ; @_ZN2at6native12cross_kernelIN3c108BFloat16E16OffsetCalculatorILi3EjLb0EEiEEviPT_PKS6_S9_T0_T1_SB_SB_
; %bb.0:
	s_load_dword s24, s[4:5], 0x0
	s_load_dword s0, s[4:5], 0x1bc
	v_mov_b32_e32 v1, 0
	v_mov_b32_e32 v2, s6
	s_waitcnt lgkmcnt(0)
	s_ashr_i32 s25, s24, 31
	s_add_u32 s16, s4, 0x1b0
	s_addc_u32 s17, s5, 0
	s_and_b32 s33, s0, 0xffff
	v_mad_u64_u32 v[2:3], s[0:1], s33, v2, v[0:1]
	v_cmp_gt_i64_e32 vcc, s[24:25], v[2:3]
	s_and_saveexec_b64 s[0:1], vcc
	s_cbranch_execz .LBB21_13
; %bb.1:
	s_load_dwordx8 s[8:15], s[4:5], 0x20
	s_load_dwordx4 s[0:3], s[4:5], 0x8
	s_load_dwordx2 s[6:7], s[4:5], 0x18
	s_load_dwordx4 s[20:23], s[4:5], 0x1a4
	s_waitcnt lgkmcnt(0)
	s_load_dword s23, s[16:17], 0x0
                                        ; kill: killed $sgpr16 killed $sgpr17
	s_add_i32 s15, s8, -1
	s_load_dwordx4 s[16:19], s[4:5], 0xe4
	s_load_dwordx2 s[30:31], s[4:5], 0xf4
	s_cmp_gt_u32 s15, 1
	s_cselect_b64 s[26:27], -1, 0
	s_cmp_lg_u32 s8, 0
	s_cselect_b64 s[28:29], -1, 0
	s_min_u32 s36, s15, 15
	s_cmp_gt_u32 s8, 1
	s_waitcnt lgkmcnt(0)
	s_mov_b32 s15, s17
	s_mov_b32 s17, s18
	s_cselect_b64 s[34:35], -1, 0
	s_lshl_b32 s40, s22, 1
	s_add_i32 s18, s36, 1
	s_ashr_i32 s39, s21, 31
	s_mov_b32 s38, s21
	s_ashr_i32 s41, s40, 31
	s_ashr_i32 s21, s20, 31
	s_and_b32 s18, s18, 30
	s_bitcmp0_b32 s36, 0
	s_mov_b32 s8, s13
	s_mul_i32 s13, s23, s33
	s_cselect_b64 s[36:37], -1, 0
	s_ashr_i32 s23, s22, 31
	s_lshl_b64 s[38:39], s[38:39], 1
	s_lshl_b64 s[42:43], s[22:23], 1
	s_sub_u32 s33, 0, s42
	s_subb_u32 s42, 0, s43
	s_lshl_b64 s[20:21], s[20:21], 1
	s_add_u32 s4, s4, 12
	s_mov_b32 s44, 0
	s_addc_u32 s5, s5, 0
	s_lshl_b64 s[40:41], s[40:41], 1
	s_mov_b64 s[22:23], 0
	v_mov_b32_e32 v8, s1
	v_mov_b32_e32 v9, s3
	;; [unrolled: 1-line block ×5, first 2 shown]
	s_movk_i32 s1, 0x7fff
	v_mov_b32_e32 v13, s42
	v_mov_b32_e32 v14, 0x7fc00000
	;; [unrolled: 1-line block ×5, first 2 shown]
	s_branch .LBB21_3
.LBB21_2:                               ;   in Loop: Header=BB21_3 Depth=1
	v_mov_b32_e32 v7, v1
	v_lshlrev_b64 v[6:7], 1, v[6:7]
	v_add_co_u32_e32 v6, vcc, s2, v6
	v_mov_b32_e32 v5, v1
	v_addc_co_u32_e32 v7, vcc, v9, v7, vcc
	v_lshlrev_b64 v[4:5], 1, v[4:5]
	v_add_co_u32_e32 v4, vcc, s6, v4
	v_addc_co_u32_e32 v5, vcc, v10, v5, vcc
	v_add_co_u32_e32 v18, vcc, s38, v6
	v_addc_co_u32_e32 v19, vcc, v7, v11, vcc
	;; [unrolled: 2-line block ×4, first 2 shown]
	global_load_ushort v24, v[22:23], off
	global_load_ushort v25, v[18:19], off
	;; [unrolled: 1-line block ×5, first 2 shown]
	v_add_co_u32_e32 v4, vcc, s38, v18
	v_addc_co_u32_e32 v5, vcc, v19, v11, vcc
	global_load_ushort v21, v[4:5], off
	v_lshlrev_b64 v[4:5], 1, v[0:1]
	v_add_co_u32_e32 v4, vcc, s0, v4
	v_addc_co_u32_e32 v5, vcc, v8, v5, vcc
	s_waitcnt vmcnt(5)
	v_lshlrev_b32_e32 v18, 16, v24
	s_waitcnt vmcnt(4)
	v_lshlrev_b32_e32 v19, 16, v25
	;; [unrolled: 2-line block ×5, first 2 shown]
	v_mov_b32_e32 v22, v19
	v_mov_b32_e32 v23, v18
	s_waitcnt vmcnt(0)
	v_lshlrev_b32_e32 v21, 16, v21
	v_pk_mul_f32 v[24:25], v[20:21], v[6:7]
	v_pk_mul_f32 v[6:7], v[18:19], v[6:7]
	;; [unrolled: 1-line block ×3, first 2 shown]
	v_bfe_u32 v20, v24, 16, 1
	v_bfe_u32 v0, v25, 16, 1
	v_add3_u32 v20, v24, v20, s1
	v_bfe_u32 v22, v7, 16, 1
	v_add3_u32 v0, v25, v0, s1
	v_and_b32_e32 v20, 0xffff0000, v20
	v_cmp_o_f32_e32 vcc, v24, v24
	v_bfe_u32 v21, v6, 16, 1
	v_add3_u32 v22, v7, v22, s1
	v_and_b32_e32 v0, 0xffff0000, v0
	v_cndmask_b32_e32 v20, v14, v20, vcc
	v_cmp_o_f32_e32 vcc, v25, v25
	v_bfe_u32 v26, v19, 16, 1
	v_add3_u32 v21, v6, v21, s1
	v_and_b32_e32 v22, 0xffff0000, v22
	v_cndmask_b32_e32 v0, v14, v0, vcc
	;; [unrolled: 5-line block ×3, first 2 shown]
	v_cmp_o_f32_e32 vcc, v6, v6
	v_add3_u32 v23, v18, v23, s1
	v_and_b32_e32 v26, 0xffff0000, v26
	v_cndmask_b32_e32 v6, v14, v21, vcc
	v_cmp_o_f32_e32 vcc, v19, v19
	v_and_b32_e32 v23, 0xffff0000, v23
	v_cndmask_b32_e32 v19, v14, v26, vcc
	v_cmp_o_f32_e32 vcc, v18, v18
	v_cndmask_b32_e32 v18, v14, v23, vcc
	v_sub_f32_e32 v0, v0, v20
	v_sub_f32_e32 v6, v6, v7
	v_sub_f32_e32 v7, v18, v19
	v_bfe_u32 v18, v0, 16, 1
	v_bfe_u32 v20, v7, 16, 1
	v_add3_u32 v18, v0, v18, s1
	v_bfe_u32 v19, v6, 16, 1
	v_add3_u32 v20, v7, v20, s1
	v_lshrrev_b32_e32 v18, 16, v18
	v_cmp_o_f32_e32 vcc, v0, v0
	v_add3_u32 v19, v6, v19, s1
	v_lshrrev_b32_e32 v20, 16, v20
	v_cndmask_b32_e32 v0, v15, v18, vcc
	v_cmp_o_f32_e32 vcc, v7, v7
	v_lshrrev_b32_e32 v19, 16, v19
	v_cndmask_b32_e32 v7, v15, v20, vcc
	v_cmp_o_f32_e32 vcc, v6, v6
	v_cndmask_b32_e32 v6, v15, v19, vcc
	global_store_short v[4:5], v7, off
	v_add_co_u32_e32 v4, vcc, s20, v4
	v_addc_co_u32_e32 v5, vcc, v5, v16, vcc
	global_store_short v[4:5], v0, off
	v_add_co_u32_e32 v4, vcc, s20, v4
	v_addc_co_u32_e32 v5, vcc, v5, v16, vcc
	v_add_co_u32_e32 v2, vcc, s13, v2
	v_addc_co_u32_e32 v3, vcc, v3, v17, vcc
	v_cmp_le_i64_e32 vcc, s[24:25], v[2:3]
	s_or_b64 s[22:23], vcc, s[22:23]
	global_store_short v[4:5], v6, off
	s_andn2_b64 exec, exec, s[22:23]
	s_cbranch_execz .LBB21_13
.LBB21_3:                               ; =>This Loop Header: Depth=1
                                        ;     Child Loop BB21_6 Depth 2
	s_andn2_b64 vcc, exec, s[26:27]
	s_cbranch_vccnz .LBB21_10
; %bb.4:                                ;   in Loop: Header=BB21_3 Depth=1
	s_andn2_b64 vcc, exec, s[28:29]
	v_mov_b32_e32 v4, 0
	v_mov_b32_e32 v6, 0
	;; [unrolled: 1-line block ×3, first 2 shown]
	s_cbranch_vccnz .LBB21_9
; %bb.5:                                ;   in Loop: Header=BB21_3 Depth=1
	v_mov_b32_e32 v0, 0
	s_mov_b32 s3, s18
	s_mov_b64 s[42:43], s[4:5]
	v_mov_b32_e32 v5, v2
	v_mov_b32_e32 v6, v0
	;; [unrolled: 1-line block ×3, first 2 shown]
.LBB21_6:                               ;   Parent Loop BB21_3 Depth=1
                                        ; =>  This Inner Loop Header: Depth=2
	s_mov_b64 s[52:53], s[42:43]
	s_load_dwordx4 s[44:47], s[52:53], 0x18
	s_load_dwordx2 s[54:55], s[52:53], 0x28
	s_load_dwordx2 s[56:57], s[52:53], 0xe8
	s_load_dwordx4 s[48:51], s[52:53], 0xd8
	s_add_u32 s42, s52, 24
	s_waitcnt lgkmcnt(0)
	v_mul_hi_u32 v7, s45, v5
	v_add_u32_e32 v7, v5, v7
	v_lshrrev_b32_e32 v7, s46, v7
	v_mul_lo_u32 v18, v7, s44
	v_mul_hi_u32 v19, s54, v7
	v_sub_u32_e32 v5, v5, v18
	v_add_u32_e32 v18, v7, v19
	v_mul_lo_u32 v19, v5, s48
	v_mul_lo_u32 v20, v5, s49
	;; [unrolled: 1-line block ×3, first 2 shown]
	v_lshrrev_b32_e32 v5, s55, v18
	v_mul_lo_u32 v18, v5, s47
	v_sub_u32_e32 v7, v7, v18
	s_addc_u32 s43, s53, 0
	s_add_i32 s3, s3, -2
	v_mul_lo_u32 v18, v7, s51
	v_mul_lo_u32 v22, v7, s56
	v_mul_lo_u32 v7, v7, s57
	s_cmp_lg_u32 s3, 0
	v_add3_u32 v0, v19, v0, v18
	v_add3_u32 v4, v21, v4, v7
	;; [unrolled: 1-line block ×3, first 2 shown]
	s_cbranch_scc1 .LBB21_6
; %bb.7:                                ;   in Loop: Header=BB21_3 Depth=1
	s_andn2_b64 vcc, exec, s[36:37]
	s_cbranch_vccnz .LBB21_9
; %bb.8:                                ;   in Loop: Header=BB21_3 Depth=1
	s_load_dwordx2 s[44:45], s[42:43], 0x18
	s_load_dword s3, s[42:43], 0x20
	s_load_dword s7, s[42:43], 0xe0
	s_load_dwordx2 s[46:47], s[42:43], 0xd8
	s_waitcnt lgkmcnt(0)
	v_mul_hi_u32 v7, s45, v5
	v_add_u32_e32 v7, v5, v7
	v_lshrrev_b32_e32 v7, s3, v7
	v_mul_lo_u32 v7, v7, s44
	v_sub_u32_e32 v5, v5, v7
	v_mad_u64_u32 v[18:19], s[42:43], v5, s46, v[0:1]
	v_mad_u64_u32 v[6:7], s[42:43], v5, s47, v[6:7]
	;; [unrolled: 1-line block ×3, first 2 shown]
	v_mov_b32_e32 v0, v18
.LBB21_9:                               ;   in Loop: Header=BB21_3 Depth=1
	s_cbranch_execnz .LBB21_2
	s_branch .LBB21_11
.LBB21_10:                              ;   in Loop: Header=BB21_3 Depth=1
                                        ; implicit-def: $vgpr4
                                        ; implicit-def: $vgpr6
.LBB21_11:                              ;   in Loop: Header=BB21_3 Depth=1
	v_mul_hi_u32 v0, v2, s10
	v_add_u32_e32 v0, v0, v2
	v_lshrrev_b32_e32 v5, s11, v0
	v_mul_lo_u32 v0, v5, s9
	v_sub_u32_e32 v6, v2, v0
	v_mul_lo_u32 v0, v6, s16
	v_mul_lo_u32 v4, v6, s17
	s_andn2_b64 vcc, exec, s[34:35]
	v_mul_lo_u32 v6, v6, s15
	s_cbranch_vccnz .LBB21_2
; %bb.12:                               ;   in Loop: Header=BB21_3 Depth=1
	v_mul_hi_u32 v7, s8, v5
	v_add_u32_e32 v7, v5, v7
	v_lshrrev_b32_e32 v7, s14, v7
	v_mul_lo_u32 v7, v7, s12
	v_sub_u32_e32 v5, v5, v7
	v_mad_u64_u32 v[18:19], s[42:43], v5, s19, v[0:1]
	v_mad_u64_u32 v[6:7], s[42:43], v5, s30, v[6:7]
	;; [unrolled: 1-line block ×3, first 2 shown]
	v_mov_b32_e32 v0, v18
	s_branch .LBB21_2
.LBB21_13:
	s_endpgm
	.section	.rodata,"a",@progbits
	.p2align	6, 0x0
	.amdhsa_kernel _ZN2at6native12cross_kernelIN3c108BFloat16E16OffsetCalculatorILi3EjLb0EEiEEviPT_PKS6_S9_T0_T1_SB_SB_
		.amdhsa_group_segment_fixed_size 0
		.amdhsa_private_segment_fixed_size 0
		.amdhsa_kernarg_size 688
		.amdhsa_user_sgpr_count 6
		.amdhsa_user_sgpr_private_segment_buffer 1
		.amdhsa_user_sgpr_dispatch_ptr 0
		.amdhsa_user_sgpr_queue_ptr 0
		.amdhsa_user_sgpr_kernarg_segment_ptr 1
		.amdhsa_user_sgpr_dispatch_id 0
		.amdhsa_user_sgpr_flat_scratch_init 0
		.amdhsa_user_sgpr_kernarg_preload_length 0
		.amdhsa_user_sgpr_kernarg_preload_offset 0
		.amdhsa_user_sgpr_private_segment_size 0
		.amdhsa_uses_dynamic_stack 0
		.amdhsa_system_sgpr_private_segment_wavefront_offset 0
		.amdhsa_system_sgpr_workgroup_id_x 1
		.amdhsa_system_sgpr_workgroup_id_y 0
		.amdhsa_system_sgpr_workgroup_id_z 0
		.amdhsa_system_sgpr_workgroup_info 0
		.amdhsa_system_vgpr_workitem_id 0
		.amdhsa_next_free_vgpr 29
		.amdhsa_next_free_sgpr 58
		.amdhsa_accum_offset 32
		.amdhsa_reserve_vcc 1
		.amdhsa_reserve_flat_scratch 0
		.amdhsa_float_round_mode_32 0
		.amdhsa_float_round_mode_16_64 0
		.amdhsa_float_denorm_mode_32 3
		.amdhsa_float_denorm_mode_16_64 3
		.amdhsa_dx10_clamp 1
		.amdhsa_ieee_mode 1
		.amdhsa_fp16_overflow 0
		.amdhsa_tg_split 0
		.amdhsa_exception_fp_ieee_invalid_op 0
		.amdhsa_exception_fp_denorm_src 0
		.amdhsa_exception_fp_ieee_div_zero 0
		.amdhsa_exception_fp_ieee_overflow 0
		.amdhsa_exception_fp_ieee_underflow 0
		.amdhsa_exception_fp_ieee_inexact 0
		.amdhsa_exception_int_div_zero 0
	.end_amdhsa_kernel
	.section	.text._ZN2at6native12cross_kernelIN3c108BFloat16E16OffsetCalculatorILi3EjLb0EEiEEviPT_PKS6_S9_T0_T1_SB_SB_,"axG",@progbits,_ZN2at6native12cross_kernelIN3c108BFloat16E16OffsetCalculatorILi3EjLb0EEiEEviPT_PKS6_S9_T0_T1_SB_SB_,comdat
.Lfunc_end21:
	.size	_ZN2at6native12cross_kernelIN3c108BFloat16E16OffsetCalculatorILi3EjLb0EEiEEviPT_PKS6_S9_T0_T1_SB_SB_, .Lfunc_end21-_ZN2at6native12cross_kernelIN3c108BFloat16E16OffsetCalculatorILi3EjLb0EEiEEviPT_PKS6_S9_T0_T1_SB_SB_
                                        ; -- End function
	.section	.AMDGPU.csdata,"",@progbits
; Kernel info:
; codeLenInByte = 1360
; NumSgprs: 62
; NumVgprs: 29
; NumAgprs: 0
; TotalNumVgprs: 29
; ScratchSize: 0
; MemoryBound: 0
; FloatMode: 240
; IeeeMode: 1
; LDSByteSize: 0 bytes/workgroup (compile time only)
; SGPRBlocks: 7
; VGPRBlocks: 3
; NumSGPRsForWavesPerEU: 62
; NumVGPRsForWavesPerEU: 29
; AccumOffset: 32
; Occupancy: 8
; WaveLimiterHint : 1
; COMPUTE_PGM_RSRC2:SCRATCH_EN: 0
; COMPUTE_PGM_RSRC2:USER_SGPR: 6
; COMPUTE_PGM_RSRC2:TRAP_HANDLER: 0
; COMPUTE_PGM_RSRC2:TGID_X_EN: 1
; COMPUTE_PGM_RSRC2:TGID_Y_EN: 0
; COMPUTE_PGM_RSRC2:TGID_Z_EN: 0
; COMPUTE_PGM_RSRC2:TIDIG_COMP_CNT: 0
; COMPUTE_PGM_RSRC3_GFX90A:ACCUM_OFFSET: 7
; COMPUTE_PGM_RSRC3_GFX90A:TG_SPLIT: 0
	.text
	.p2alignl 6, 3212836864
	.fill 256, 4, 3212836864
	.type	__hip_cuid_27318883ec7099f,@object ; @__hip_cuid_27318883ec7099f
	.section	.bss,"aw",@nobits
	.globl	__hip_cuid_27318883ec7099f
__hip_cuid_27318883ec7099f:
	.byte	0                               ; 0x0
	.size	__hip_cuid_27318883ec7099f, 1

	.ident	"AMD clang version 19.0.0git (https://github.com/RadeonOpenCompute/llvm-project roc-6.4.0 25133 c7fe45cf4b819c5991fe208aaa96edf142730f1d)"
	.section	".note.GNU-stack","",@progbits
	.addrsig
	.addrsig_sym __hip_cuid_27318883ec7099f
	.amdgpu_metadata
---
amdhsa.kernels:
  - .agpr_count:     0
    .args:
      - .offset:         0
        .size:           4
        .value_kind:     by_value
      - .address_space:  global
        .offset:         8
        .size:           8
        .value_kind:     global_buffer
      - .address_space:  global
        .offset:         16
        .size:           8
        .value_kind:     global_buffer
      - .address_space:  global
        .offset:         24
        .size:           8
        .value_kind:     global_buffer
      - .offset:         32
        .size:           388
        .value_kind:     by_value
      - .offset:         424
        .size:           8
        .value_kind:     by_value
      - .offset:         432
        .size:           8
        .value_kind:     by_value
      - .offset:         440
        .size:           8
        .value_kind:     by_value
      - .offset:         448
        .size:           4
        .value_kind:     hidden_block_count_x
      - .offset:         452
        .size:           4
        .value_kind:     hidden_block_count_y
      - .offset:         456
        .size:           4
        .value_kind:     hidden_block_count_z
      - .offset:         460
        .size:           2
        .value_kind:     hidden_group_size_x
      - .offset:         462
        .size:           2
        .value_kind:     hidden_group_size_y
      - .offset:         464
        .size:           2
        .value_kind:     hidden_group_size_z
      - .offset:         466
        .size:           2
        .value_kind:     hidden_remainder_x
      - .offset:         468
        .size:           2
        .value_kind:     hidden_remainder_y
      - .offset:         470
        .size:           2
        .value_kind:     hidden_remainder_z
      - .offset:         488
        .size:           8
        .value_kind:     hidden_global_offset_x
      - .offset:         496
        .size:           8
        .value_kind:     hidden_global_offset_y
      - .offset:         504
        .size:           8
        .value_kind:     hidden_global_offset_z
      - .offset:         512
        .size:           2
        .value_kind:     hidden_grid_dims
    .group_segment_fixed_size: 0
    .kernarg_segment_align: 8
    .kernarg_segment_size: 704
    .language:       OpenCL C
    .language_version:
      - 2
      - 0
    .max_flat_workgroup_size: 1024
    .name:           _ZN2at6native12cross_kernelIh16OffsetCalculatorILi3EjLb0EElEEviPT_PKS4_S7_T0_T1_S9_S9_
    .private_segment_fixed_size: 0
    .sgpr_count:     64
    .sgpr_spill_count: 0
    .symbol:         _ZN2at6native12cross_kernelIh16OffsetCalculatorILi3EjLb0EElEEviPT_PKS4_S7_T0_T1_S9_S9_.kd
    .uniform_work_group_size: 1
    .uses_dynamic_stack: false
    .vgpr_count:     25
    .vgpr_spill_count: 0
    .wavefront_size: 64
  - .agpr_count:     0
    .args:
      - .offset:         0
        .size:           4
        .value_kind:     by_value
      - .address_space:  global
        .offset:         8
        .size:           8
        .value_kind:     global_buffer
      - .address_space:  global
        .offset:         16
        .size:           8
        .value_kind:     global_buffer
      - .address_space:  global
        .offset:         24
        .size:           8
        .value_kind:     global_buffer
      - .offset:         32
        .size:           388
        .value_kind:     by_value
      - .offset:         420
        .size:           4
        .value_kind:     by_value
      - .offset:         424
        .size:           4
        .value_kind:     by_value
      - .offset:         428
        .size:           4
        .value_kind:     by_value
      - .offset:         432
        .size:           4
        .value_kind:     hidden_block_count_x
      - .offset:         436
        .size:           4
        .value_kind:     hidden_block_count_y
      - .offset:         440
        .size:           4
        .value_kind:     hidden_block_count_z
      - .offset:         444
        .size:           2
        .value_kind:     hidden_group_size_x
      - .offset:         446
        .size:           2
        .value_kind:     hidden_group_size_y
      - .offset:         448
        .size:           2
        .value_kind:     hidden_group_size_z
      - .offset:         450
        .size:           2
        .value_kind:     hidden_remainder_x
      - .offset:         452
        .size:           2
        .value_kind:     hidden_remainder_y
      - .offset:         454
        .size:           2
        .value_kind:     hidden_remainder_z
      - .offset:         472
        .size:           8
        .value_kind:     hidden_global_offset_x
      - .offset:         480
        .size:           8
        .value_kind:     hidden_global_offset_y
      - .offset:         488
        .size:           8
        .value_kind:     hidden_global_offset_z
      - .offset:         496
        .size:           2
        .value_kind:     hidden_grid_dims
    .group_segment_fixed_size: 0
    .kernarg_segment_align: 8
    .kernarg_segment_size: 688
    .language:       OpenCL C
    .language_version:
      - 2
      - 0
    .max_flat_workgroup_size: 1024
    .name:           _ZN2at6native12cross_kernelIh16OffsetCalculatorILi3EjLb0EEiEEviPT_PKS4_S7_T0_T1_S9_S9_
    .private_segment_fixed_size: 0
    .sgpr_count:     62
    .sgpr_spill_count: 0
    .symbol:         _ZN2at6native12cross_kernelIh16OffsetCalculatorILi3EjLb0EEiEEviPT_PKS4_S7_T0_T1_S9_S9_.kd
    .uniform_work_group_size: 1
    .uses_dynamic_stack: false
    .vgpr_count:     27
    .vgpr_spill_count: 0
    .wavefront_size: 64
  - .agpr_count:     0
    .args:
      - .offset:         0
        .size:           4
        .value_kind:     by_value
      - .address_space:  global
        .offset:         8
        .size:           8
        .value_kind:     global_buffer
      - .address_space:  global
        .offset:         16
        .size:           8
        .value_kind:     global_buffer
      - .address_space:  global
        .offset:         24
        .size:           8
        .value_kind:     global_buffer
      - .offset:         32
        .size:           388
        .value_kind:     by_value
      - .offset:         424
        .size:           8
        .value_kind:     by_value
      - .offset:         432
        .size:           8
        .value_kind:     by_value
      - .offset:         440
        .size:           8
        .value_kind:     by_value
      - .offset:         448
        .size:           4
        .value_kind:     hidden_block_count_x
      - .offset:         452
        .size:           4
        .value_kind:     hidden_block_count_y
      - .offset:         456
        .size:           4
        .value_kind:     hidden_block_count_z
      - .offset:         460
        .size:           2
        .value_kind:     hidden_group_size_x
      - .offset:         462
        .size:           2
        .value_kind:     hidden_group_size_y
      - .offset:         464
        .size:           2
        .value_kind:     hidden_group_size_z
      - .offset:         466
        .size:           2
        .value_kind:     hidden_remainder_x
      - .offset:         468
        .size:           2
        .value_kind:     hidden_remainder_y
      - .offset:         470
        .size:           2
        .value_kind:     hidden_remainder_z
      - .offset:         488
        .size:           8
        .value_kind:     hidden_global_offset_x
      - .offset:         496
        .size:           8
        .value_kind:     hidden_global_offset_y
      - .offset:         504
        .size:           8
        .value_kind:     hidden_global_offset_z
      - .offset:         512
        .size:           2
        .value_kind:     hidden_grid_dims
    .group_segment_fixed_size: 0
    .kernarg_segment_align: 8
    .kernarg_segment_size: 704
    .language:       OpenCL C
    .language_version:
      - 2
      - 0
    .max_flat_workgroup_size: 1024
    .name:           _ZN2at6native12cross_kernelIa16OffsetCalculatorILi3EjLb0EElEEviPT_PKS4_S7_T0_T1_S9_S9_
    .private_segment_fixed_size: 0
    .sgpr_count:     64
    .sgpr_spill_count: 0
    .symbol:         _ZN2at6native12cross_kernelIa16OffsetCalculatorILi3EjLb0EElEEviPT_PKS4_S7_T0_T1_S9_S9_.kd
    .uniform_work_group_size: 1
    .uses_dynamic_stack: false
    .vgpr_count:     25
    .vgpr_spill_count: 0
    .wavefront_size: 64
  - .agpr_count:     0
    .args:
      - .offset:         0
        .size:           4
        .value_kind:     by_value
      - .address_space:  global
        .offset:         8
        .size:           8
        .value_kind:     global_buffer
      - .address_space:  global
        .offset:         16
        .size:           8
        .value_kind:     global_buffer
      - .address_space:  global
        .offset:         24
        .size:           8
        .value_kind:     global_buffer
      - .offset:         32
        .size:           388
        .value_kind:     by_value
      - .offset:         420
        .size:           4
        .value_kind:     by_value
      - .offset:         424
        .size:           4
        .value_kind:     by_value
      - .offset:         428
        .size:           4
        .value_kind:     by_value
      - .offset:         432
        .size:           4
        .value_kind:     hidden_block_count_x
      - .offset:         436
        .size:           4
        .value_kind:     hidden_block_count_y
      - .offset:         440
        .size:           4
        .value_kind:     hidden_block_count_z
      - .offset:         444
        .size:           2
        .value_kind:     hidden_group_size_x
      - .offset:         446
        .size:           2
        .value_kind:     hidden_group_size_y
      - .offset:         448
        .size:           2
        .value_kind:     hidden_group_size_z
      - .offset:         450
        .size:           2
        .value_kind:     hidden_remainder_x
      - .offset:         452
        .size:           2
        .value_kind:     hidden_remainder_y
      - .offset:         454
        .size:           2
        .value_kind:     hidden_remainder_z
      - .offset:         472
        .size:           8
        .value_kind:     hidden_global_offset_x
      - .offset:         480
        .size:           8
        .value_kind:     hidden_global_offset_y
      - .offset:         488
        .size:           8
        .value_kind:     hidden_global_offset_z
      - .offset:         496
        .size:           2
        .value_kind:     hidden_grid_dims
    .group_segment_fixed_size: 0
    .kernarg_segment_align: 8
    .kernarg_segment_size: 688
    .language:       OpenCL C
    .language_version:
      - 2
      - 0
    .max_flat_workgroup_size: 1024
    .name:           _ZN2at6native12cross_kernelIa16OffsetCalculatorILi3EjLb0EEiEEviPT_PKS4_S7_T0_T1_S9_S9_
    .private_segment_fixed_size: 0
    .sgpr_count:     62
    .sgpr_spill_count: 0
    .symbol:         _ZN2at6native12cross_kernelIa16OffsetCalculatorILi3EjLb0EEiEEviPT_PKS4_S7_T0_T1_S9_S9_.kd
    .uniform_work_group_size: 1
    .uses_dynamic_stack: false
    .vgpr_count:     27
    .vgpr_spill_count: 0
    .wavefront_size: 64
  - .agpr_count:     0
    .args:
      - .offset:         0
        .size:           4
        .value_kind:     by_value
      - .address_space:  global
        .offset:         8
        .size:           8
        .value_kind:     global_buffer
      - .address_space:  global
        .offset:         16
        .size:           8
        .value_kind:     global_buffer
      - .address_space:  global
        .offset:         24
        .size:           8
        .value_kind:     global_buffer
      - .offset:         32
        .size:           388
        .value_kind:     by_value
      - .offset:         424
        .size:           8
        .value_kind:     by_value
      - .offset:         432
        .size:           8
        .value_kind:     by_value
      - .offset:         440
        .size:           8
        .value_kind:     by_value
      - .offset:         448
        .size:           4
        .value_kind:     hidden_block_count_x
      - .offset:         452
        .size:           4
        .value_kind:     hidden_block_count_y
      - .offset:         456
        .size:           4
        .value_kind:     hidden_block_count_z
      - .offset:         460
        .size:           2
        .value_kind:     hidden_group_size_x
      - .offset:         462
        .size:           2
        .value_kind:     hidden_group_size_y
      - .offset:         464
        .size:           2
        .value_kind:     hidden_group_size_z
      - .offset:         466
        .size:           2
        .value_kind:     hidden_remainder_x
      - .offset:         468
        .size:           2
        .value_kind:     hidden_remainder_y
      - .offset:         470
        .size:           2
        .value_kind:     hidden_remainder_z
      - .offset:         488
        .size:           8
        .value_kind:     hidden_global_offset_x
      - .offset:         496
        .size:           8
        .value_kind:     hidden_global_offset_y
      - .offset:         504
        .size:           8
        .value_kind:     hidden_global_offset_z
      - .offset:         512
        .size:           2
        .value_kind:     hidden_grid_dims
    .group_segment_fixed_size: 0
    .kernarg_segment_align: 8
    .kernarg_segment_size: 704
    .language:       OpenCL C
    .language_version:
      - 2
      - 0
    .max_flat_workgroup_size: 1024
    .name:           _ZN2at6native12cross_kernelIi16OffsetCalculatorILi3EjLb0EElEEviPT_PKS4_S7_T0_T1_S9_S9_
    .private_segment_fixed_size: 0
    .sgpr_count:     62
    .sgpr_spill_count: 0
    .symbol:         _ZN2at6native12cross_kernelIi16OffsetCalculatorILi3EjLb0EElEEviPT_PKS4_S7_T0_T1_S9_S9_.kd
    .uniform_work_group_size: 1
    .uses_dynamic_stack: false
    .vgpr_count:     25
    .vgpr_spill_count: 0
    .wavefront_size: 64
  - .agpr_count:     0
    .args:
      - .offset:         0
        .size:           4
        .value_kind:     by_value
      - .address_space:  global
        .offset:         8
        .size:           8
        .value_kind:     global_buffer
      - .address_space:  global
        .offset:         16
        .size:           8
        .value_kind:     global_buffer
      - .address_space:  global
        .offset:         24
        .size:           8
        .value_kind:     global_buffer
      - .offset:         32
        .size:           388
        .value_kind:     by_value
      - .offset:         420
        .size:           4
        .value_kind:     by_value
      - .offset:         424
        .size:           4
        .value_kind:     by_value
      - .offset:         428
        .size:           4
        .value_kind:     by_value
      - .offset:         432
        .size:           4
        .value_kind:     hidden_block_count_x
      - .offset:         436
        .size:           4
        .value_kind:     hidden_block_count_y
      - .offset:         440
        .size:           4
        .value_kind:     hidden_block_count_z
      - .offset:         444
        .size:           2
        .value_kind:     hidden_group_size_x
      - .offset:         446
        .size:           2
        .value_kind:     hidden_group_size_y
      - .offset:         448
        .size:           2
        .value_kind:     hidden_group_size_z
      - .offset:         450
        .size:           2
        .value_kind:     hidden_remainder_x
      - .offset:         452
        .size:           2
        .value_kind:     hidden_remainder_y
      - .offset:         454
        .size:           2
        .value_kind:     hidden_remainder_z
      - .offset:         472
        .size:           8
        .value_kind:     hidden_global_offset_x
      - .offset:         480
        .size:           8
        .value_kind:     hidden_global_offset_y
      - .offset:         488
        .size:           8
        .value_kind:     hidden_global_offset_z
      - .offset:         496
        .size:           2
        .value_kind:     hidden_grid_dims
    .group_segment_fixed_size: 0
    .kernarg_segment_align: 8
    .kernarg_segment_size: 688
    .language:       OpenCL C
    .language_version:
      - 2
      - 0
    .max_flat_workgroup_size: 1024
    .name:           _ZN2at6native12cross_kernelIi16OffsetCalculatorILi3EjLb0EEiEEviPT_PKS4_S7_T0_T1_S9_S9_
    .private_segment_fixed_size: 0
    .sgpr_count:     62
    .sgpr_spill_count: 0
    .symbol:         _ZN2at6native12cross_kernelIi16OffsetCalculatorILi3EjLb0EEiEEviPT_PKS4_S7_T0_T1_S9_S9_.kd
    .uniform_work_group_size: 1
    .uses_dynamic_stack: false
    .vgpr_count:     25
    .vgpr_spill_count: 0
    .wavefront_size: 64
  - .agpr_count:     0
    .args:
      - .offset:         0
        .size:           4
        .value_kind:     by_value
      - .address_space:  global
        .offset:         8
        .size:           8
        .value_kind:     global_buffer
      - .address_space:  global
        .offset:         16
        .size:           8
        .value_kind:     global_buffer
      - .address_space:  global
        .offset:         24
        .size:           8
        .value_kind:     global_buffer
      - .offset:         32
        .size:           388
        .value_kind:     by_value
      - .offset:         424
        .size:           8
        .value_kind:     by_value
      - .offset:         432
        .size:           8
        .value_kind:     by_value
      - .offset:         440
        .size:           8
        .value_kind:     by_value
      - .offset:         448
        .size:           4
        .value_kind:     hidden_block_count_x
      - .offset:         452
        .size:           4
        .value_kind:     hidden_block_count_y
      - .offset:         456
        .size:           4
        .value_kind:     hidden_block_count_z
      - .offset:         460
        .size:           2
        .value_kind:     hidden_group_size_x
      - .offset:         462
        .size:           2
        .value_kind:     hidden_group_size_y
      - .offset:         464
        .size:           2
        .value_kind:     hidden_group_size_z
      - .offset:         466
        .size:           2
        .value_kind:     hidden_remainder_x
      - .offset:         468
        .size:           2
        .value_kind:     hidden_remainder_y
      - .offset:         470
        .size:           2
        .value_kind:     hidden_remainder_z
      - .offset:         488
        .size:           8
        .value_kind:     hidden_global_offset_x
      - .offset:         496
        .size:           8
        .value_kind:     hidden_global_offset_y
      - .offset:         504
        .size:           8
        .value_kind:     hidden_global_offset_z
      - .offset:         512
        .size:           2
        .value_kind:     hidden_grid_dims
    .group_segment_fixed_size: 0
    .kernarg_segment_align: 8
    .kernarg_segment_size: 704
    .language:       OpenCL C
    .language_version:
      - 2
      - 0
    .max_flat_workgroup_size: 1024
    .name:           _ZN2at6native12cross_kernelIl16OffsetCalculatorILi3EjLb0EElEEviPT_PKS4_S7_T0_T1_S9_S9_
    .private_segment_fixed_size: 0
    .sgpr_count:     62
    .sgpr_spill_count: 0
    .symbol:         _ZN2at6native12cross_kernelIl16OffsetCalculatorILi3EjLb0EElEEviPT_PKS4_S7_T0_T1_S9_S9_.kd
    .uniform_work_group_size: 1
    .uses_dynamic_stack: false
    .vgpr_count:     38
    .vgpr_spill_count: 0
    .wavefront_size: 64
  - .agpr_count:     0
    .args:
      - .offset:         0
        .size:           4
        .value_kind:     by_value
      - .address_space:  global
        .offset:         8
        .size:           8
        .value_kind:     global_buffer
      - .address_space:  global
        .offset:         16
        .size:           8
        .value_kind:     global_buffer
      - .address_space:  global
        .offset:         24
        .size:           8
        .value_kind:     global_buffer
      - .offset:         32
        .size:           388
        .value_kind:     by_value
      - .offset:         420
        .size:           4
        .value_kind:     by_value
      - .offset:         424
        .size:           4
        .value_kind:     by_value
      - .offset:         428
        .size:           4
        .value_kind:     by_value
      - .offset:         432
        .size:           4
        .value_kind:     hidden_block_count_x
      - .offset:         436
        .size:           4
        .value_kind:     hidden_block_count_y
      - .offset:         440
        .size:           4
        .value_kind:     hidden_block_count_z
      - .offset:         444
        .size:           2
        .value_kind:     hidden_group_size_x
      - .offset:         446
        .size:           2
        .value_kind:     hidden_group_size_y
      - .offset:         448
        .size:           2
        .value_kind:     hidden_group_size_z
      - .offset:         450
        .size:           2
        .value_kind:     hidden_remainder_x
      - .offset:         452
        .size:           2
        .value_kind:     hidden_remainder_y
      - .offset:         454
        .size:           2
        .value_kind:     hidden_remainder_z
      - .offset:         472
        .size:           8
        .value_kind:     hidden_global_offset_x
      - .offset:         480
        .size:           8
        .value_kind:     hidden_global_offset_y
      - .offset:         488
        .size:           8
        .value_kind:     hidden_global_offset_z
      - .offset:         496
        .size:           2
        .value_kind:     hidden_grid_dims
    .group_segment_fixed_size: 0
    .kernarg_segment_align: 8
    .kernarg_segment_size: 688
    .language:       OpenCL C
    .language_version:
      - 2
      - 0
    .max_flat_workgroup_size: 1024
    .name:           _ZN2at6native12cross_kernelIl16OffsetCalculatorILi3EjLb0EEiEEviPT_PKS4_S7_T0_T1_S9_S9_
    .private_segment_fixed_size: 0
    .sgpr_count:     62
    .sgpr_spill_count: 0
    .symbol:         _ZN2at6native12cross_kernelIl16OffsetCalculatorILi3EjLb0EEiEEviPT_PKS4_S7_T0_T1_S9_S9_.kd
    .uniform_work_group_size: 1
    .uses_dynamic_stack: false
    .vgpr_count:     38
    .vgpr_spill_count: 0
    .wavefront_size: 64
  - .agpr_count:     0
    .args:
      - .offset:         0
        .size:           4
        .value_kind:     by_value
      - .address_space:  global
        .offset:         8
        .size:           8
        .value_kind:     global_buffer
      - .address_space:  global
        .offset:         16
        .size:           8
        .value_kind:     global_buffer
      - .address_space:  global
        .offset:         24
        .size:           8
        .value_kind:     global_buffer
      - .offset:         32
        .size:           388
        .value_kind:     by_value
      - .offset:         424
        .size:           8
        .value_kind:     by_value
      - .offset:         432
        .size:           8
        .value_kind:     by_value
      - .offset:         440
        .size:           8
        .value_kind:     by_value
      - .offset:         448
        .size:           4
        .value_kind:     hidden_block_count_x
      - .offset:         452
        .size:           4
        .value_kind:     hidden_block_count_y
      - .offset:         456
        .size:           4
        .value_kind:     hidden_block_count_z
      - .offset:         460
        .size:           2
        .value_kind:     hidden_group_size_x
      - .offset:         462
        .size:           2
        .value_kind:     hidden_group_size_y
      - .offset:         464
        .size:           2
        .value_kind:     hidden_group_size_z
      - .offset:         466
        .size:           2
        .value_kind:     hidden_remainder_x
      - .offset:         468
        .size:           2
        .value_kind:     hidden_remainder_y
      - .offset:         470
        .size:           2
        .value_kind:     hidden_remainder_z
      - .offset:         488
        .size:           8
        .value_kind:     hidden_global_offset_x
      - .offset:         496
        .size:           8
        .value_kind:     hidden_global_offset_y
      - .offset:         504
        .size:           8
        .value_kind:     hidden_global_offset_z
      - .offset:         512
        .size:           2
        .value_kind:     hidden_grid_dims
    .group_segment_fixed_size: 0
    .kernarg_segment_align: 8
    .kernarg_segment_size: 704
    .language:       OpenCL C
    .language_version:
      - 2
      - 0
    .max_flat_workgroup_size: 1024
    .name:           _ZN2at6native12cross_kernelIs16OffsetCalculatorILi3EjLb0EElEEviPT_PKS4_S7_T0_T1_S9_S9_
    .private_segment_fixed_size: 0
    .sgpr_count:     62
    .sgpr_spill_count: 0
    .symbol:         _ZN2at6native12cross_kernelIs16OffsetCalculatorILi3EjLb0EElEEviPT_PKS4_S7_T0_T1_S9_S9_.kd
    .uniform_work_group_size: 1
    .uses_dynamic_stack: false
    .vgpr_count:     25
    .vgpr_spill_count: 0
    .wavefront_size: 64
  - .agpr_count:     0
    .args:
      - .offset:         0
        .size:           4
        .value_kind:     by_value
      - .address_space:  global
        .offset:         8
        .size:           8
        .value_kind:     global_buffer
      - .address_space:  global
        .offset:         16
        .size:           8
        .value_kind:     global_buffer
      - .address_space:  global
        .offset:         24
        .size:           8
        .value_kind:     global_buffer
      - .offset:         32
        .size:           388
        .value_kind:     by_value
      - .offset:         420
        .size:           4
        .value_kind:     by_value
      - .offset:         424
        .size:           4
        .value_kind:     by_value
      - .offset:         428
        .size:           4
        .value_kind:     by_value
      - .offset:         432
        .size:           4
        .value_kind:     hidden_block_count_x
      - .offset:         436
        .size:           4
        .value_kind:     hidden_block_count_y
      - .offset:         440
        .size:           4
        .value_kind:     hidden_block_count_z
      - .offset:         444
        .size:           2
        .value_kind:     hidden_group_size_x
      - .offset:         446
        .size:           2
        .value_kind:     hidden_group_size_y
      - .offset:         448
        .size:           2
        .value_kind:     hidden_group_size_z
      - .offset:         450
        .size:           2
        .value_kind:     hidden_remainder_x
      - .offset:         452
        .size:           2
        .value_kind:     hidden_remainder_y
      - .offset:         454
        .size:           2
        .value_kind:     hidden_remainder_z
      - .offset:         472
        .size:           8
        .value_kind:     hidden_global_offset_x
      - .offset:         480
        .size:           8
        .value_kind:     hidden_global_offset_y
      - .offset:         488
        .size:           8
        .value_kind:     hidden_global_offset_z
      - .offset:         496
        .size:           2
        .value_kind:     hidden_grid_dims
    .group_segment_fixed_size: 0
    .kernarg_segment_align: 8
    .kernarg_segment_size: 688
    .language:       OpenCL C
    .language_version:
      - 2
      - 0
    .max_flat_workgroup_size: 1024
    .name:           _ZN2at6native12cross_kernelIs16OffsetCalculatorILi3EjLb0EEiEEviPT_PKS4_S7_T0_T1_S9_S9_
    .private_segment_fixed_size: 0
    .sgpr_count:     62
    .sgpr_spill_count: 0
    .symbol:         _ZN2at6native12cross_kernelIs16OffsetCalculatorILi3EjLb0EEiEEviPT_PKS4_S7_T0_T1_S9_S9_.kd
    .uniform_work_group_size: 1
    .uses_dynamic_stack: false
    .vgpr_count:     25
    .vgpr_spill_count: 0
    .wavefront_size: 64
  - .agpr_count:     0
    .args:
      - .offset:         0
        .size:           4
        .value_kind:     by_value
      - .address_space:  global
        .offset:         8
        .size:           8
        .value_kind:     global_buffer
      - .address_space:  global
        .offset:         16
        .size:           8
        .value_kind:     global_buffer
      - .address_space:  global
        .offset:         24
        .size:           8
        .value_kind:     global_buffer
      - .offset:         32
        .size:           388
        .value_kind:     by_value
      - .offset:         424
        .size:           8
        .value_kind:     by_value
      - .offset:         432
        .size:           8
        .value_kind:     by_value
      - .offset:         440
        .size:           8
        .value_kind:     by_value
      - .offset:         448
        .size:           4
        .value_kind:     hidden_block_count_x
      - .offset:         452
        .size:           4
        .value_kind:     hidden_block_count_y
      - .offset:         456
        .size:           4
        .value_kind:     hidden_block_count_z
      - .offset:         460
        .size:           2
        .value_kind:     hidden_group_size_x
      - .offset:         462
        .size:           2
        .value_kind:     hidden_group_size_y
      - .offset:         464
        .size:           2
        .value_kind:     hidden_group_size_z
      - .offset:         466
        .size:           2
        .value_kind:     hidden_remainder_x
      - .offset:         468
        .size:           2
        .value_kind:     hidden_remainder_y
      - .offset:         470
        .size:           2
        .value_kind:     hidden_remainder_z
      - .offset:         488
        .size:           8
        .value_kind:     hidden_global_offset_x
      - .offset:         496
        .size:           8
        .value_kind:     hidden_global_offset_y
      - .offset:         504
        .size:           8
        .value_kind:     hidden_global_offset_z
      - .offset:         512
        .size:           2
        .value_kind:     hidden_grid_dims
    .group_segment_fixed_size: 0
    .kernarg_segment_align: 8
    .kernarg_segment_size: 704
    .language:       OpenCL C
    .language_version:
      - 2
      - 0
    .max_flat_workgroup_size: 1024
    .name:           _ZN2at6native12cross_kernelId16OffsetCalculatorILi3EjLb0EElEEviPT_PKS4_S7_T0_T1_S9_S9_
    .private_segment_fixed_size: 0
    .sgpr_count:     62
    .sgpr_spill_count: 0
    .symbol:         _ZN2at6native12cross_kernelId16OffsetCalculatorILi3EjLb0EElEEviPT_PKS4_S7_T0_T1_S9_S9_.kd
    .uniform_work_group_size: 1
    .uses_dynamic_stack: false
    .vgpr_count:     36
    .vgpr_spill_count: 0
    .wavefront_size: 64
  - .agpr_count:     0
    .args:
      - .offset:         0
        .size:           4
        .value_kind:     by_value
      - .address_space:  global
        .offset:         8
        .size:           8
        .value_kind:     global_buffer
      - .address_space:  global
        .offset:         16
        .size:           8
        .value_kind:     global_buffer
      - .address_space:  global
        .offset:         24
        .size:           8
        .value_kind:     global_buffer
      - .offset:         32
        .size:           388
        .value_kind:     by_value
      - .offset:         420
        .size:           4
        .value_kind:     by_value
      - .offset:         424
        .size:           4
        .value_kind:     by_value
      - .offset:         428
        .size:           4
        .value_kind:     by_value
      - .offset:         432
        .size:           4
        .value_kind:     hidden_block_count_x
      - .offset:         436
        .size:           4
        .value_kind:     hidden_block_count_y
      - .offset:         440
        .size:           4
        .value_kind:     hidden_block_count_z
      - .offset:         444
        .size:           2
        .value_kind:     hidden_group_size_x
      - .offset:         446
        .size:           2
        .value_kind:     hidden_group_size_y
      - .offset:         448
        .size:           2
        .value_kind:     hidden_group_size_z
      - .offset:         450
        .size:           2
        .value_kind:     hidden_remainder_x
      - .offset:         452
        .size:           2
        .value_kind:     hidden_remainder_y
      - .offset:         454
        .size:           2
        .value_kind:     hidden_remainder_z
      - .offset:         472
        .size:           8
        .value_kind:     hidden_global_offset_x
      - .offset:         480
        .size:           8
        .value_kind:     hidden_global_offset_y
      - .offset:         488
        .size:           8
        .value_kind:     hidden_global_offset_z
      - .offset:         496
        .size:           2
        .value_kind:     hidden_grid_dims
    .group_segment_fixed_size: 0
    .kernarg_segment_align: 8
    .kernarg_segment_size: 688
    .language:       OpenCL C
    .language_version:
      - 2
      - 0
    .max_flat_workgroup_size: 1024
    .name:           _ZN2at6native12cross_kernelId16OffsetCalculatorILi3EjLb0EEiEEviPT_PKS4_S7_T0_T1_S9_S9_
    .private_segment_fixed_size: 0
    .sgpr_count:     62
    .sgpr_spill_count: 0
    .symbol:         _ZN2at6native12cross_kernelId16OffsetCalculatorILi3EjLb0EEiEEviPT_PKS4_S7_T0_T1_S9_S9_.kd
    .uniform_work_group_size: 1
    .uses_dynamic_stack: false
    .vgpr_count:     36
    .vgpr_spill_count: 0
    .wavefront_size: 64
  - .agpr_count:     0
    .args:
      - .offset:         0
        .size:           4
        .value_kind:     by_value
      - .address_space:  global
        .offset:         8
        .size:           8
        .value_kind:     global_buffer
      - .address_space:  global
        .offset:         16
        .size:           8
        .value_kind:     global_buffer
      - .address_space:  global
        .offset:         24
        .size:           8
        .value_kind:     global_buffer
      - .offset:         32
        .size:           388
        .value_kind:     by_value
      - .offset:         424
        .size:           8
        .value_kind:     by_value
      - .offset:         432
        .size:           8
        .value_kind:     by_value
      - .offset:         440
        .size:           8
        .value_kind:     by_value
      - .offset:         448
        .size:           4
        .value_kind:     hidden_block_count_x
      - .offset:         452
        .size:           4
        .value_kind:     hidden_block_count_y
      - .offset:         456
        .size:           4
        .value_kind:     hidden_block_count_z
      - .offset:         460
        .size:           2
        .value_kind:     hidden_group_size_x
      - .offset:         462
        .size:           2
        .value_kind:     hidden_group_size_y
      - .offset:         464
        .size:           2
        .value_kind:     hidden_group_size_z
      - .offset:         466
        .size:           2
        .value_kind:     hidden_remainder_x
      - .offset:         468
        .size:           2
        .value_kind:     hidden_remainder_y
      - .offset:         470
        .size:           2
        .value_kind:     hidden_remainder_z
      - .offset:         488
        .size:           8
        .value_kind:     hidden_global_offset_x
      - .offset:         496
        .size:           8
        .value_kind:     hidden_global_offset_y
      - .offset:         504
        .size:           8
        .value_kind:     hidden_global_offset_z
      - .offset:         512
        .size:           2
        .value_kind:     hidden_grid_dims
    .group_segment_fixed_size: 0
    .kernarg_segment_align: 8
    .kernarg_segment_size: 704
    .language:       OpenCL C
    .language_version:
      - 2
      - 0
    .max_flat_workgroup_size: 1024
    .name:           _ZN2at6native12cross_kernelIf16OffsetCalculatorILi3EjLb0EElEEviPT_PKS4_S7_T0_T1_S9_S9_
    .private_segment_fixed_size: 0
    .sgpr_count:     62
    .sgpr_spill_count: 0
    .symbol:         _ZN2at6native12cross_kernelIf16OffsetCalculatorILi3EjLb0EElEEviPT_PKS4_S7_T0_T1_S9_S9_.kd
    .uniform_work_group_size: 1
    .uses_dynamic_stack: false
    .vgpr_count:     26
    .vgpr_spill_count: 0
    .wavefront_size: 64
  - .agpr_count:     0
    .args:
      - .offset:         0
        .size:           4
        .value_kind:     by_value
      - .address_space:  global
        .offset:         8
        .size:           8
        .value_kind:     global_buffer
      - .address_space:  global
        .offset:         16
        .size:           8
        .value_kind:     global_buffer
      - .address_space:  global
        .offset:         24
        .size:           8
        .value_kind:     global_buffer
      - .offset:         32
        .size:           388
        .value_kind:     by_value
      - .offset:         420
        .size:           4
        .value_kind:     by_value
      - .offset:         424
        .size:           4
        .value_kind:     by_value
      - .offset:         428
        .size:           4
        .value_kind:     by_value
      - .offset:         432
        .size:           4
        .value_kind:     hidden_block_count_x
      - .offset:         436
        .size:           4
        .value_kind:     hidden_block_count_y
      - .offset:         440
        .size:           4
        .value_kind:     hidden_block_count_z
      - .offset:         444
        .size:           2
        .value_kind:     hidden_group_size_x
      - .offset:         446
        .size:           2
        .value_kind:     hidden_group_size_y
      - .offset:         448
        .size:           2
        .value_kind:     hidden_group_size_z
      - .offset:         450
        .size:           2
        .value_kind:     hidden_remainder_x
      - .offset:         452
        .size:           2
        .value_kind:     hidden_remainder_y
      - .offset:         454
        .size:           2
        .value_kind:     hidden_remainder_z
      - .offset:         472
        .size:           8
        .value_kind:     hidden_global_offset_x
      - .offset:         480
        .size:           8
        .value_kind:     hidden_global_offset_y
      - .offset:         488
        .size:           8
        .value_kind:     hidden_global_offset_z
      - .offset:         496
        .size:           2
        .value_kind:     hidden_grid_dims
    .group_segment_fixed_size: 0
    .kernarg_segment_align: 8
    .kernarg_segment_size: 688
    .language:       OpenCL C
    .language_version:
      - 2
      - 0
    .max_flat_workgroup_size: 1024
    .name:           _ZN2at6native12cross_kernelIf16OffsetCalculatorILi3EjLb0EEiEEviPT_PKS4_S7_T0_T1_S9_S9_
    .private_segment_fixed_size: 0
    .sgpr_count:     62
    .sgpr_spill_count: 0
    .symbol:         _ZN2at6native12cross_kernelIf16OffsetCalculatorILi3EjLb0EEiEEviPT_PKS4_S7_T0_T1_S9_S9_.kd
    .uniform_work_group_size: 1
    .uses_dynamic_stack: false
    .vgpr_count:     26
    .vgpr_spill_count: 0
    .wavefront_size: 64
  - .agpr_count:     0
    .args:
      - .offset:         0
        .size:           4
        .value_kind:     by_value
      - .address_space:  global
        .offset:         8
        .size:           8
        .value_kind:     global_buffer
      - .address_space:  global
        .offset:         16
        .size:           8
        .value_kind:     global_buffer
      - .address_space:  global
        .offset:         24
        .size:           8
        .value_kind:     global_buffer
      - .offset:         32
        .size:           388
        .value_kind:     by_value
      - .offset:         424
        .size:           8
        .value_kind:     by_value
      - .offset:         432
        .size:           8
        .value_kind:     by_value
      - .offset:         440
        .size:           8
        .value_kind:     by_value
      - .offset:         448
        .size:           4
        .value_kind:     hidden_block_count_x
      - .offset:         452
        .size:           4
        .value_kind:     hidden_block_count_y
      - .offset:         456
        .size:           4
        .value_kind:     hidden_block_count_z
      - .offset:         460
        .size:           2
        .value_kind:     hidden_group_size_x
      - .offset:         462
        .size:           2
        .value_kind:     hidden_group_size_y
      - .offset:         464
        .size:           2
        .value_kind:     hidden_group_size_z
      - .offset:         466
        .size:           2
        .value_kind:     hidden_remainder_x
      - .offset:         468
        .size:           2
        .value_kind:     hidden_remainder_y
      - .offset:         470
        .size:           2
        .value_kind:     hidden_remainder_z
      - .offset:         488
        .size:           8
        .value_kind:     hidden_global_offset_x
      - .offset:         496
        .size:           8
        .value_kind:     hidden_global_offset_y
      - .offset:         504
        .size:           8
        .value_kind:     hidden_global_offset_z
      - .offset:         512
        .size:           2
        .value_kind:     hidden_grid_dims
    .group_segment_fixed_size: 0
    .kernarg_segment_align: 8
    .kernarg_segment_size: 704
    .language:       OpenCL C
    .language_version:
      - 2
      - 0
    .max_flat_workgroup_size: 1024
    .name:           _ZN2at6native12cross_kernelIN3c107complexIdEE16OffsetCalculatorILi3EjLb0EElEEviPT_PKS7_SA_T0_T1_SC_SC_
    .private_segment_fixed_size: 0
    .sgpr_count:     62
    .sgpr_spill_count: 0
    .symbol:         _ZN2at6native12cross_kernelIN3c107complexIdEE16OffsetCalculatorILi3EjLb0EElEEviPT_PKS7_SA_T0_T1_SC_SC_.kd
    .uniform_work_group_size: 1
    .uses_dynamic_stack: false
    .vgpr_count:     54
    .vgpr_spill_count: 0
    .wavefront_size: 64
  - .agpr_count:     0
    .args:
      - .offset:         0
        .size:           4
        .value_kind:     by_value
      - .address_space:  global
        .offset:         8
        .size:           8
        .value_kind:     global_buffer
      - .address_space:  global
        .offset:         16
        .size:           8
        .value_kind:     global_buffer
      - .address_space:  global
        .offset:         24
        .size:           8
        .value_kind:     global_buffer
      - .offset:         32
        .size:           388
        .value_kind:     by_value
      - .offset:         420
        .size:           4
        .value_kind:     by_value
      - .offset:         424
        .size:           4
        .value_kind:     by_value
      - .offset:         428
        .size:           4
        .value_kind:     by_value
      - .offset:         432
        .size:           4
        .value_kind:     hidden_block_count_x
      - .offset:         436
        .size:           4
        .value_kind:     hidden_block_count_y
      - .offset:         440
        .size:           4
        .value_kind:     hidden_block_count_z
      - .offset:         444
        .size:           2
        .value_kind:     hidden_group_size_x
      - .offset:         446
        .size:           2
        .value_kind:     hidden_group_size_y
      - .offset:         448
        .size:           2
        .value_kind:     hidden_group_size_z
      - .offset:         450
        .size:           2
        .value_kind:     hidden_remainder_x
      - .offset:         452
        .size:           2
        .value_kind:     hidden_remainder_y
      - .offset:         454
        .size:           2
        .value_kind:     hidden_remainder_z
      - .offset:         472
        .size:           8
        .value_kind:     hidden_global_offset_x
      - .offset:         480
        .size:           8
        .value_kind:     hidden_global_offset_y
      - .offset:         488
        .size:           8
        .value_kind:     hidden_global_offset_z
      - .offset:         496
        .size:           2
        .value_kind:     hidden_grid_dims
    .group_segment_fixed_size: 0
    .kernarg_segment_align: 8
    .kernarg_segment_size: 688
    .language:       OpenCL C
    .language_version:
      - 2
      - 0
    .max_flat_workgroup_size: 1024
    .name:           _ZN2at6native12cross_kernelIN3c107complexIdEE16OffsetCalculatorILi3EjLb0EEiEEviPT_PKS7_SA_T0_T1_SC_SC_
    .private_segment_fixed_size: 0
    .sgpr_count:     62
    .sgpr_spill_count: 0
    .symbol:         _ZN2at6native12cross_kernelIN3c107complexIdEE16OffsetCalculatorILi3EjLb0EEiEEviPT_PKS7_SA_T0_T1_SC_SC_.kd
    .uniform_work_group_size: 1
    .uses_dynamic_stack: false
    .vgpr_count:     54
    .vgpr_spill_count: 0
    .wavefront_size: 64
  - .agpr_count:     0
    .args:
      - .offset:         0
        .size:           4
        .value_kind:     by_value
      - .address_space:  global
        .offset:         8
        .size:           8
        .value_kind:     global_buffer
      - .address_space:  global
        .offset:         16
        .size:           8
        .value_kind:     global_buffer
      - .address_space:  global
        .offset:         24
        .size:           8
        .value_kind:     global_buffer
      - .offset:         32
        .size:           388
        .value_kind:     by_value
      - .offset:         424
        .size:           8
        .value_kind:     by_value
      - .offset:         432
        .size:           8
        .value_kind:     by_value
      - .offset:         440
        .size:           8
        .value_kind:     by_value
      - .offset:         448
        .size:           4
        .value_kind:     hidden_block_count_x
      - .offset:         452
        .size:           4
        .value_kind:     hidden_block_count_y
      - .offset:         456
        .size:           4
        .value_kind:     hidden_block_count_z
      - .offset:         460
        .size:           2
        .value_kind:     hidden_group_size_x
      - .offset:         462
        .size:           2
        .value_kind:     hidden_group_size_y
      - .offset:         464
        .size:           2
        .value_kind:     hidden_group_size_z
      - .offset:         466
        .size:           2
        .value_kind:     hidden_remainder_x
      - .offset:         468
        .size:           2
        .value_kind:     hidden_remainder_y
      - .offset:         470
        .size:           2
        .value_kind:     hidden_remainder_z
      - .offset:         488
        .size:           8
        .value_kind:     hidden_global_offset_x
      - .offset:         496
        .size:           8
        .value_kind:     hidden_global_offset_y
      - .offset:         504
        .size:           8
        .value_kind:     hidden_global_offset_z
      - .offset:         512
        .size:           2
        .value_kind:     hidden_grid_dims
    .group_segment_fixed_size: 0
    .kernarg_segment_align: 8
    .kernarg_segment_size: 704
    .language:       OpenCL C
    .language_version:
      - 2
      - 0
    .max_flat_workgroup_size: 1024
    .name:           _ZN2at6native12cross_kernelIN3c107complexIfEE16OffsetCalculatorILi3EjLb0EElEEviPT_PKS7_SA_T0_T1_SC_SC_
    .private_segment_fixed_size: 0
    .sgpr_count:     62
    .sgpr_spill_count: 0
    .symbol:         _ZN2at6native12cross_kernelIN3c107complexIfEE16OffsetCalculatorILi3EjLb0EElEEviPT_PKS7_SA_T0_T1_SC_SC_.kd
    .uniform_work_group_size: 1
    .uses_dynamic_stack: false
    .vgpr_count:     38
    .vgpr_spill_count: 0
    .wavefront_size: 64
  - .agpr_count:     0
    .args:
      - .offset:         0
        .size:           4
        .value_kind:     by_value
      - .address_space:  global
        .offset:         8
        .size:           8
        .value_kind:     global_buffer
      - .address_space:  global
        .offset:         16
        .size:           8
        .value_kind:     global_buffer
      - .address_space:  global
        .offset:         24
        .size:           8
        .value_kind:     global_buffer
      - .offset:         32
        .size:           388
        .value_kind:     by_value
      - .offset:         420
        .size:           4
        .value_kind:     by_value
      - .offset:         424
        .size:           4
        .value_kind:     by_value
      - .offset:         428
        .size:           4
        .value_kind:     by_value
      - .offset:         432
        .size:           4
        .value_kind:     hidden_block_count_x
      - .offset:         436
        .size:           4
        .value_kind:     hidden_block_count_y
      - .offset:         440
        .size:           4
        .value_kind:     hidden_block_count_z
      - .offset:         444
        .size:           2
        .value_kind:     hidden_group_size_x
      - .offset:         446
        .size:           2
        .value_kind:     hidden_group_size_y
      - .offset:         448
        .size:           2
        .value_kind:     hidden_group_size_z
      - .offset:         450
        .size:           2
        .value_kind:     hidden_remainder_x
      - .offset:         452
        .size:           2
        .value_kind:     hidden_remainder_y
      - .offset:         454
        .size:           2
        .value_kind:     hidden_remainder_z
      - .offset:         472
        .size:           8
        .value_kind:     hidden_global_offset_x
      - .offset:         480
        .size:           8
        .value_kind:     hidden_global_offset_y
      - .offset:         488
        .size:           8
        .value_kind:     hidden_global_offset_z
      - .offset:         496
        .size:           2
        .value_kind:     hidden_grid_dims
    .group_segment_fixed_size: 0
    .kernarg_segment_align: 8
    .kernarg_segment_size: 688
    .language:       OpenCL C
    .language_version:
      - 2
      - 0
    .max_flat_workgroup_size: 1024
    .name:           _ZN2at6native12cross_kernelIN3c107complexIfEE16OffsetCalculatorILi3EjLb0EEiEEviPT_PKS7_SA_T0_T1_SC_SC_
    .private_segment_fixed_size: 0
    .sgpr_count:     62
    .sgpr_spill_count: 0
    .symbol:         _ZN2at6native12cross_kernelIN3c107complexIfEE16OffsetCalculatorILi3EjLb0EEiEEviPT_PKS7_SA_T0_T1_SC_SC_.kd
    .uniform_work_group_size: 1
    .uses_dynamic_stack: false
    .vgpr_count:     38
    .vgpr_spill_count: 0
    .wavefront_size: 64
  - .agpr_count:     0
    .args:
      - .offset:         0
        .size:           4
        .value_kind:     by_value
      - .address_space:  global
        .offset:         8
        .size:           8
        .value_kind:     global_buffer
      - .address_space:  global
        .offset:         16
        .size:           8
        .value_kind:     global_buffer
      - .address_space:  global
        .offset:         24
        .size:           8
        .value_kind:     global_buffer
      - .offset:         32
        .size:           388
        .value_kind:     by_value
      - .offset:         424
        .size:           8
        .value_kind:     by_value
      - .offset:         432
        .size:           8
        .value_kind:     by_value
      - .offset:         440
        .size:           8
        .value_kind:     by_value
      - .offset:         448
        .size:           4
        .value_kind:     hidden_block_count_x
      - .offset:         452
        .size:           4
        .value_kind:     hidden_block_count_y
      - .offset:         456
        .size:           4
        .value_kind:     hidden_block_count_z
      - .offset:         460
        .size:           2
        .value_kind:     hidden_group_size_x
      - .offset:         462
        .size:           2
        .value_kind:     hidden_group_size_y
      - .offset:         464
        .size:           2
        .value_kind:     hidden_group_size_z
      - .offset:         466
        .size:           2
        .value_kind:     hidden_remainder_x
      - .offset:         468
        .size:           2
        .value_kind:     hidden_remainder_y
      - .offset:         470
        .size:           2
        .value_kind:     hidden_remainder_z
      - .offset:         488
        .size:           8
        .value_kind:     hidden_global_offset_x
      - .offset:         496
        .size:           8
        .value_kind:     hidden_global_offset_y
      - .offset:         504
        .size:           8
        .value_kind:     hidden_global_offset_z
      - .offset:         512
        .size:           2
        .value_kind:     hidden_grid_dims
    .group_segment_fixed_size: 0
    .kernarg_segment_align: 8
    .kernarg_segment_size: 704
    .language:       OpenCL C
    .language_version:
      - 2
      - 0
    .max_flat_workgroup_size: 1024
    .name:           _ZN2at6native12cross_kernelIN3c104HalfE16OffsetCalculatorILi3EjLb0EElEEviPT_PKS6_S9_T0_T1_SB_SB_
    .private_segment_fixed_size: 0
    .sgpr_count:     62
    .sgpr_spill_count: 0
    .symbol:         _ZN2at6native12cross_kernelIN3c104HalfE16OffsetCalculatorILi3EjLb0EElEEviPT_PKS6_S9_T0_T1_SB_SB_.kd
    .uniform_work_group_size: 1
    .uses_dynamic_stack: false
    .vgpr_count:     26
    .vgpr_spill_count: 0
    .wavefront_size: 64
  - .agpr_count:     0
    .args:
      - .offset:         0
        .size:           4
        .value_kind:     by_value
      - .address_space:  global
        .offset:         8
        .size:           8
        .value_kind:     global_buffer
      - .address_space:  global
        .offset:         16
        .size:           8
        .value_kind:     global_buffer
      - .address_space:  global
        .offset:         24
        .size:           8
        .value_kind:     global_buffer
      - .offset:         32
        .size:           388
        .value_kind:     by_value
      - .offset:         420
        .size:           4
        .value_kind:     by_value
      - .offset:         424
        .size:           4
        .value_kind:     by_value
      - .offset:         428
        .size:           4
        .value_kind:     by_value
      - .offset:         432
        .size:           4
        .value_kind:     hidden_block_count_x
      - .offset:         436
        .size:           4
        .value_kind:     hidden_block_count_y
      - .offset:         440
        .size:           4
        .value_kind:     hidden_block_count_z
      - .offset:         444
        .size:           2
        .value_kind:     hidden_group_size_x
      - .offset:         446
        .size:           2
        .value_kind:     hidden_group_size_y
      - .offset:         448
        .size:           2
        .value_kind:     hidden_group_size_z
      - .offset:         450
        .size:           2
        .value_kind:     hidden_remainder_x
      - .offset:         452
        .size:           2
        .value_kind:     hidden_remainder_y
      - .offset:         454
        .size:           2
        .value_kind:     hidden_remainder_z
      - .offset:         472
        .size:           8
        .value_kind:     hidden_global_offset_x
      - .offset:         480
        .size:           8
        .value_kind:     hidden_global_offset_y
      - .offset:         488
        .size:           8
        .value_kind:     hidden_global_offset_z
      - .offset:         496
        .size:           2
        .value_kind:     hidden_grid_dims
    .group_segment_fixed_size: 0
    .kernarg_segment_align: 8
    .kernarg_segment_size: 688
    .language:       OpenCL C
    .language_version:
      - 2
      - 0
    .max_flat_workgroup_size: 1024
    .name:           _ZN2at6native12cross_kernelIN3c104HalfE16OffsetCalculatorILi3EjLb0EEiEEviPT_PKS6_S9_T0_T1_SB_SB_
    .private_segment_fixed_size: 0
    .sgpr_count:     62
    .sgpr_spill_count: 0
    .symbol:         _ZN2at6native12cross_kernelIN3c104HalfE16OffsetCalculatorILi3EjLb0EEiEEviPT_PKS6_S9_T0_T1_SB_SB_.kd
    .uniform_work_group_size: 1
    .uses_dynamic_stack: false
    .vgpr_count:     26
    .vgpr_spill_count: 0
    .wavefront_size: 64
  - .agpr_count:     0
    .args:
      - .offset:         0
        .size:           4
        .value_kind:     by_value
      - .address_space:  global
        .offset:         8
        .size:           8
        .value_kind:     global_buffer
      - .address_space:  global
        .offset:         16
        .size:           8
        .value_kind:     global_buffer
      - .address_space:  global
        .offset:         24
        .size:           8
        .value_kind:     global_buffer
      - .offset:         32
        .size:           388
        .value_kind:     by_value
      - .offset:         424
        .size:           8
        .value_kind:     by_value
      - .offset:         432
        .size:           8
        .value_kind:     by_value
      - .offset:         440
        .size:           8
        .value_kind:     by_value
      - .offset:         448
        .size:           4
        .value_kind:     hidden_block_count_x
      - .offset:         452
        .size:           4
        .value_kind:     hidden_block_count_y
      - .offset:         456
        .size:           4
        .value_kind:     hidden_block_count_z
      - .offset:         460
        .size:           2
        .value_kind:     hidden_group_size_x
      - .offset:         462
        .size:           2
        .value_kind:     hidden_group_size_y
      - .offset:         464
        .size:           2
        .value_kind:     hidden_group_size_z
      - .offset:         466
        .size:           2
        .value_kind:     hidden_remainder_x
      - .offset:         468
        .size:           2
        .value_kind:     hidden_remainder_y
      - .offset:         470
        .size:           2
        .value_kind:     hidden_remainder_z
      - .offset:         488
        .size:           8
        .value_kind:     hidden_global_offset_x
      - .offset:         496
        .size:           8
        .value_kind:     hidden_global_offset_y
      - .offset:         504
        .size:           8
        .value_kind:     hidden_global_offset_z
      - .offset:         512
        .size:           2
        .value_kind:     hidden_grid_dims
    .group_segment_fixed_size: 0
    .kernarg_segment_align: 8
    .kernarg_segment_size: 704
    .language:       OpenCL C
    .language_version:
      - 2
      - 0
    .max_flat_workgroup_size: 1024
    .name:           _ZN2at6native12cross_kernelIN3c108BFloat16E16OffsetCalculatorILi3EjLb0EElEEviPT_PKS6_S9_T0_T1_SB_SB_
    .private_segment_fixed_size: 0
    .sgpr_count:     62
    .sgpr_spill_count: 0
    .symbol:         _ZN2at6native12cross_kernelIN3c108BFloat16E16OffsetCalculatorILi3EjLb0EElEEviPT_PKS6_S9_T0_T1_SB_SB_.kd
    .uniform_work_group_size: 1
    .uses_dynamic_stack: false
    .vgpr_count:     29
    .vgpr_spill_count: 0
    .wavefront_size: 64
  - .agpr_count:     0
    .args:
      - .offset:         0
        .size:           4
        .value_kind:     by_value
      - .address_space:  global
        .offset:         8
        .size:           8
        .value_kind:     global_buffer
      - .address_space:  global
        .offset:         16
        .size:           8
        .value_kind:     global_buffer
      - .address_space:  global
        .offset:         24
        .size:           8
        .value_kind:     global_buffer
      - .offset:         32
        .size:           388
        .value_kind:     by_value
      - .offset:         420
        .size:           4
        .value_kind:     by_value
      - .offset:         424
        .size:           4
        .value_kind:     by_value
      - .offset:         428
        .size:           4
        .value_kind:     by_value
      - .offset:         432
        .size:           4
        .value_kind:     hidden_block_count_x
      - .offset:         436
        .size:           4
        .value_kind:     hidden_block_count_y
      - .offset:         440
        .size:           4
        .value_kind:     hidden_block_count_z
      - .offset:         444
        .size:           2
        .value_kind:     hidden_group_size_x
      - .offset:         446
        .size:           2
        .value_kind:     hidden_group_size_y
      - .offset:         448
        .size:           2
        .value_kind:     hidden_group_size_z
      - .offset:         450
        .size:           2
        .value_kind:     hidden_remainder_x
      - .offset:         452
        .size:           2
        .value_kind:     hidden_remainder_y
      - .offset:         454
        .size:           2
        .value_kind:     hidden_remainder_z
      - .offset:         472
        .size:           8
        .value_kind:     hidden_global_offset_x
      - .offset:         480
        .size:           8
        .value_kind:     hidden_global_offset_y
      - .offset:         488
        .size:           8
        .value_kind:     hidden_global_offset_z
      - .offset:         496
        .size:           2
        .value_kind:     hidden_grid_dims
    .group_segment_fixed_size: 0
    .kernarg_segment_align: 8
    .kernarg_segment_size: 688
    .language:       OpenCL C
    .language_version:
      - 2
      - 0
    .max_flat_workgroup_size: 1024
    .name:           _ZN2at6native12cross_kernelIN3c108BFloat16E16OffsetCalculatorILi3EjLb0EEiEEviPT_PKS6_S9_T0_T1_SB_SB_
    .private_segment_fixed_size: 0
    .sgpr_count:     62
    .sgpr_spill_count: 0
    .symbol:         _ZN2at6native12cross_kernelIN3c108BFloat16E16OffsetCalculatorILi3EjLb0EEiEEviPT_PKS6_S9_T0_T1_SB_SB_.kd
    .uniform_work_group_size: 1
    .uses_dynamic_stack: false
    .vgpr_count:     29
    .vgpr_spill_count: 0
    .wavefront_size: 64
amdhsa.target:   amdgcn-amd-amdhsa--gfx90a
amdhsa.version:
  - 1
  - 2
...

	.end_amdgpu_metadata
